;; amdgpu-corpus repo=ROCm/rocFFT kind=compiled arch=gfx950 opt=O3
	.text
	.amdgcn_target "amdgcn-amd-amdhsa--gfx950"
	.amdhsa_code_object_version 6
	.protected	fft_rtc_fwd_len3840_factors_10_6_2_2_2_2_2_2_wgs_128_tpt_128_halfLds_sp_op_CI_CI_unitstride_sbrr_C2R_dirReg ; -- Begin function fft_rtc_fwd_len3840_factors_10_6_2_2_2_2_2_2_wgs_128_tpt_128_halfLds_sp_op_CI_CI_unitstride_sbrr_C2R_dirReg
	.globl	fft_rtc_fwd_len3840_factors_10_6_2_2_2_2_2_2_wgs_128_tpt_128_halfLds_sp_op_CI_CI_unitstride_sbrr_C2R_dirReg
	.p2align	8
	.type	fft_rtc_fwd_len3840_factors_10_6_2_2_2_2_2_2_wgs_128_tpt_128_halfLds_sp_op_CI_CI_unitstride_sbrr_C2R_dirReg,@function
fft_rtc_fwd_len3840_factors_10_6_2_2_2_2_2_2_wgs_128_tpt_128_halfLds_sp_op_CI_CI_unitstride_sbrr_C2R_dirReg: ; @fft_rtc_fwd_len3840_factors_10_6_2_2_2_2_2_2_wgs_128_tpt_128_halfLds_sp_op_CI_CI_unitstride_sbrr_C2R_dirReg
; %bb.0:
	s_load_dwordx4 s[4:7], s[0:1], 0x58
	s_load_dwordx4 s[8:11], s[0:1], 0x0
	;; [unrolled: 1-line block ×3, first 2 shown]
	v_mov_b32_e32 v6, s2
	v_mov_b32_e32 v4, 0
	v_mov_b32_e32 v7, v4
	s_waitcnt lgkmcnt(0)
	v_cmp_lt_u64_e64 s[2:3], s[10:11], 2
	s_and_b64 vcc, exec, s[2:3]
	v_mov_b64_e32 v[2:3], 0
	s_cbranch_vccnz .LBB0_8
; %bb.1:
	s_load_dwordx2 s[2:3], s[0:1], 0x10
	s_add_u32 s16, s14, 8
	s_addc_u32 s17, s15, 0
	s_add_u32 s18, s12, 8
	s_addc_u32 s19, s13, 0
	s_waitcnt lgkmcnt(0)
	s_add_u32 s20, s2, 8
	v_mov_b64_e32 v[2:3], 0
	s_addc_u32 s21, s3, 0
	s_mov_b64 s[22:23], 1
	v_mov_b64_e32 v[58:59], v[2:3]
.LBB0_2:                                ; =>This Inner Loop Header: Depth=1
	s_load_dwordx2 s[24:25], s[20:21], 0x0
                                        ; implicit-def: $vgpr60_vgpr61
	s_waitcnt lgkmcnt(0)
	v_or_b32_e32 v5, s25, v7
	v_cmp_ne_u64_e32 vcc, 0, v[4:5]
	s_and_saveexec_b64 s[2:3], vcc
	s_xor_b64 s[26:27], exec, s[2:3]
	s_cbranch_execz .LBB0_4
; %bb.3:                                ;   in Loop: Header=BB0_2 Depth=1
	v_cvt_f32_u32_e32 v1, s24
	v_cvt_f32_u32_e32 v5, s25
	s_sub_u32 s2, 0, s24
	s_subb_u32 s3, 0, s25
	v_fmac_f32_e32 v1, 0x4f800000, v5
	v_rcp_f32_e32 v1, v1
	s_nop 0
	v_mul_f32_e32 v1, 0x5f7ffffc, v1
	v_mul_f32_e32 v5, 0x2f800000, v1
	v_trunc_f32_e32 v5, v5
	v_fmac_f32_e32 v1, 0xcf800000, v5
	v_cvt_u32_f32_e32 v5, v5
	v_cvt_u32_f32_e32 v1, v1
	v_mul_lo_u32 v8, s2, v5
	v_mul_hi_u32 v10, s2, v1
	v_mul_lo_u32 v9, s3, v1
	v_add_u32_e32 v10, v10, v8
	v_mul_lo_u32 v12, s2, v1
	v_add_u32_e32 v13, v10, v9
	v_mul_hi_u32 v8, v1, v12
	v_mul_hi_u32 v11, v1, v13
	v_mul_lo_u32 v10, v1, v13
	v_mov_b32_e32 v9, v4
	v_lshl_add_u64 v[8:9], v[8:9], 0, v[10:11]
	v_mul_hi_u32 v11, v5, v12
	v_mul_lo_u32 v12, v5, v12
	v_add_co_u32_e32 v8, vcc, v8, v12
	v_mul_hi_u32 v10, v5, v13
	s_nop 0
	v_addc_co_u32_e32 v8, vcc, v9, v11, vcc
	v_mov_b32_e32 v9, v4
	s_nop 0
	v_addc_co_u32_e32 v11, vcc, 0, v10, vcc
	v_mul_lo_u32 v10, v5, v13
	v_lshl_add_u64 v[8:9], v[8:9], 0, v[10:11]
	v_add_co_u32_e32 v1, vcc, v1, v8
	v_mul_lo_u32 v10, s2, v1
	s_nop 0
	v_addc_co_u32_e32 v5, vcc, v5, v9, vcc
	v_mul_lo_u32 v8, s2, v5
	v_mul_hi_u32 v9, s2, v1
	v_add_u32_e32 v8, v9, v8
	v_mul_lo_u32 v9, s3, v1
	v_add_u32_e32 v12, v8, v9
	v_mul_hi_u32 v14, v5, v10
	v_mul_lo_u32 v15, v5, v10
	v_mul_hi_u32 v9, v1, v12
	v_mul_lo_u32 v8, v1, v12
	v_mul_hi_u32 v10, v1, v10
	v_mov_b32_e32 v11, v4
	v_lshl_add_u64 v[8:9], v[10:11], 0, v[8:9]
	v_add_co_u32_e32 v8, vcc, v8, v15
	v_mul_hi_u32 v13, v5, v12
	s_nop 0
	v_addc_co_u32_e32 v8, vcc, v9, v14, vcc
	v_mul_lo_u32 v10, v5, v12
	s_nop 0
	v_addc_co_u32_e32 v11, vcc, 0, v13, vcc
	v_mov_b32_e32 v9, v4
	v_lshl_add_u64 v[8:9], v[8:9], 0, v[10:11]
	v_add_co_u32_e32 v1, vcc, v1, v8
	v_mul_hi_u32 v10, v6, v1
	s_nop 0
	v_addc_co_u32_e32 v5, vcc, v5, v9, vcc
	v_mad_u64_u32 v[8:9], s[2:3], v6, v5, 0
	v_mov_b32_e32 v11, v4
	v_lshl_add_u64 v[8:9], v[10:11], 0, v[8:9]
	v_mad_u64_u32 v[12:13], s[2:3], v7, v1, 0
	v_add_co_u32_e32 v1, vcc, v8, v12
	v_mad_u64_u32 v[10:11], s[2:3], v7, v5, 0
	s_nop 0
	v_addc_co_u32_e32 v8, vcc, v9, v13, vcc
	v_mov_b32_e32 v9, v4
	s_nop 0
	v_addc_co_u32_e32 v11, vcc, 0, v11, vcc
	v_lshl_add_u64 v[8:9], v[8:9], 0, v[10:11]
	v_mul_lo_u32 v1, s25, v8
	v_mul_lo_u32 v5, s24, v9
	v_mad_u64_u32 v[10:11], s[2:3], s24, v8, 0
	v_add3_u32 v1, v11, v5, v1
	v_sub_u32_e32 v5, v7, v1
	v_mov_b32_e32 v11, s25
	v_sub_co_u32_e32 v14, vcc, v6, v10
	v_lshl_add_u64 v[12:13], v[8:9], 0, 1
	s_nop 0
	v_subb_co_u32_e64 v5, s[2:3], v5, v11, vcc
	v_subrev_co_u32_e64 v10, s[2:3], s24, v14
	v_subb_co_u32_e32 v1, vcc, v7, v1, vcc
	s_nop 0
	v_subbrev_co_u32_e64 v5, s[2:3], 0, v5, s[2:3]
	v_cmp_le_u32_e64 s[2:3], s25, v5
	v_cmp_le_u32_e32 vcc, s25, v1
	s_nop 0
	v_cndmask_b32_e64 v11, 0, -1, s[2:3]
	v_cmp_le_u32_e64 s[2:3], s24, v10
	s_nop 1
	v_cndmask_b32_e64 v10, 0, -1, s[2:3]
	v_cmp_eq_u32_e64 s[2:3], s25, v5
	s_nop 1
	v_cndmask_b32_e64 v5, v11, v10, s[2:3]
	v_lshl_add_u64 v[10:11], v[8:9], 0, 2
	v_cmp_ne_u32_e64 s[2:3], 0, v5
	s_nop 1
	v_cndmask_b32_e64 v5, v13, v11, s[2:3]
	v_cndmask_b32_e64 v11, 0, -1, vcc
	v_cmp_le_u32_e32 vcc, s24, v14
	s_nop 1
	v_cndmask_b32_e64 v13, 0, -1, vcc
	v_cmp_eq_u32_e32 vcc, s25, v1
	s_nop 1
	v_cndmask_b32_e32 v1, v11, v13, vcc
	v_cmp_ne_u32_e32 vcc, 0, v1
	v_cndmask_b32_e64 v1, v12, v10, s[2:3]
	s_nop 0
	v_cndmask_b32_e32 v61, v9, v5, vcc
	v_cndmask_b32_e32 v60, v8, v1, vcc
.LBB0_4:                                ;   in Loop: Header=BB0_2 Depth=1
	s_andn2_saveexec_b64 s[2:3], s[26:27]
	s_cbranch_execz .LBB0_6
; %bb.5:                                ;   in Loop: Header=BB0_2 Depth=1
	v_cvt_f32_u32_e32 v1, s24
	s_sub_i32 s26, 0, s24
	v_mov_b32_e32 v61, v4
	v_rcp_iflag_f32_e32 v1, v1
	s_nop 0
	v_mul_f32_e32 v1, 0x4f7ffffe, v1
	v_cvt_u32_f32_e32 v1, v1
	v_mul_lo_u32 v5, s26, v1
	v_mul_hi_u32 v5, v1, v5
	v_add_u32_e32 v1, v1, v5
	v_mul_hi_u32 v1, v6, v1
	v_mul_lo_u32 v5, v1, s24
	v_sub_u32_e32 v5, v6, v5
	v_add_u32_e32 v8, 1, v1
	v_subrev_u32_e32 v9, s24, v5
	v_cmp_le_u32_e32 vcc, s24, v5
	s_nop 1
	v_cndmask_b32_e32 v5, v5, v9, vcc
	v_cndmask_b32_e32 v1, v1, v8, vcc
	v_add_u32_e32 v8, 1, v1
	v_cmp_le_u32_e32 vcc, s24, v5
	s_nop 1
	v_cndmask_b32_e32 v60, v1, v8, vcc
.LBB0_6:                                ;   in Loop: Header=BB0_2 Depth=1
	s_or_b64 exec, exec, s[2:3]
	v_mad_u64_u32 v[8:9], s[2:3], v60, s24, 0
	s_load_dwordx2 s[2:3], s[18:19], 0x0
	v_mul_lo_u32 v1, v61, s24
	v_mul_lo_u32 v5, v60, s25
	s_load_dwordx2 s[24:25], s[16:17], 0x0
	s_add_u32 s22, s22, 1
	v_add3_u32 v1, v9, v5, v1
	v_sub_co_u32_e32 v5, vcc, v6, v8
	s_addc_u32 s23, s23, 0
	s_nop 0
	v_subb_co_u32_e32 v1, vcc, v7, v1, vcc
	s_add_u32 s16, s16, 8
	s_waitcnt lgkmcnt(0)
	v_mul_lo_u32 v6, s2, v1
	v_mul_lo_u32 v7, s3, v5
	v_mad_u64_u32 v[2:3], s[2:3], s2, v5, v[2:3]
	s_addc_u32 s17, s17, 0
	v_add3_u32 v3, v7, v3, v6
	v_mul_lo_u32 v1, s24, v1
	v_mul_lo_u32 v6, s25, v5
	v_mad_u64_u32 v[58:59], s[2:3], s24, v5, v[58:59]
	s_add_u32 s18, s18, 8
	v_add3_u32 v59, v6, v59, v1
	s_addc_u32 s19, s19, 0
	v_mov_b64_e32 v[6:7], s[10:11]
	s_add_u32 s20, s20, 8
	v_cmp_ge_u64_e32 vcc, s[22:23], v[6:7]
	s_addc_u32 s21, s21, 0
	s_cbranch_vccnz .LBB0_9
; %bb.7:                                ;   in Loop: Header=BB0_2 Depth=1
	v_mov_b64_e32 v[6:7], v[60:61]
	s_branch .LBB0_2
.LBB0_8:
	v_mov_b64_e32 v[58:59], v[2:3]
	v_mov_b64_e32 v[60:61], v[6:7]
.LBB0_9:
	s_load_dwordx2 s[18:19], s[0:1], 0x28
	s_lshl_b64 s[16:17], s[10:11], 3
	s_add_u32 s2, s14, s16
	s_addc_u32 s3, s15, s17
                                        ; implicit-def: $vgpr62
                                        ; implicit-def: $vgpr96_vgpr97
	s_waitcnt lgkmcnt(0)
	v_cmp_gt_u64_e64 s[0:1], s[18:19], v[60:61]
	v_cmp_le_u64_e32 vcc, s[18:19], v[60:61]
	s_and_saveexec_b64 s[10:11], vcc
	s_xor_b64 s[10:11], exec, s[10:11]
; %bb.10:
	v_mov_b32_e32 v1, 0
	v_mov_b32_e32 v62, v0
	v_mov_b64_e32 v[96:97], v[0:1]
                                        ; implicit-def: $vgpr2_vgpr3
; %bb.11:
	s_or_saveexec_b64 s[10:11], s[10:11]
	s_load_dwordx2 s[2:3], s[2:3], 0x0
                                        ; implicit-def: $vgpr64
	s_xor_b64 exec, exec, s[10:11]
	s_cbranch_execz .LBB0_15
; %bb.12:
	s_add_u32 s12, s12, s16
	s_addc_u32 s13, s13, s17
	s_load_dwordx2 s[12:13], s[12:13], 0x0
	v_mov_b32_e32 v1, 0
	v_mov_b32_e32 v17, v1
	;; [unrolled: 1-line block ×4, first 2 shown]
	s_waitcnt lgkmcnt(0)
	v_mul_lo_u32 v6, s13, v60
	v_mul_lo_u32 v7, s12, v61
	v_mad_u64_u32 v[4:5], s[12:13], s12, v60, 0
	v_add3_u32 v5, v5, v7, v6
	v_lshl_add_u64 v[4:5], v[4:5], 3, s[4:5]
	v_lshl_add_u64 v[2:3], v[2:3], 3, v[4:5]
	v_lshlrev_b32_e32 v4, 3, v0
	v_mov_b32_e32 v5, v1
	v_lshl_add_u64 v[6:7], v[2:3], 0, v[4:5]
	global_load_dwordx2 v[8:9], v[6:7], off
	global_load_dwordx2 v[10:11], v[6:7], off offset:1024
	global_load_dwordx2 v[12:13], v[6:7], off offset:2048
	;; [unrolled: 1-line block ×3, first 2 shown]
	v_or_b32_e32 v6, 0x1000, v4
	v_mov_b32_e32 v7, v1
	v_or_b32_e32 v16, 0x1400, v4
	v_lshl_add_u64 v[6:7], v[2:3], 0, v[6:7]
	v_lshl_add_u64 v[16:17], v[2:3], 0, v[16:17]
	v_or_b32_e32 v18, 0x1800, v4
	v_or_b32_e32 v20, 0x1c00, v4
	;; [unrolled: 1-line block ×3, first 2 shown]
	v_mov_b32_e32 v23, v1
	v_or_b32_e32 v24, 0x2400, v4
	v_mov_b32_e32 v25, v1
	v_or_b32_e32 v26, 0x2800, v4
	;; [unrolled: 2-line block ×12, first 2 shown]
	v_mov_b32_e32 v47, v1
	v_lshl_add_u64 v[18:19], v[2:3], 0, v[18:19]
	v_lshl_add_u64 v[50:51], v[2:3], 0, v[20:21]
	v_lshl_add_u64 v[22:23], v[2:3], 0, v[22:23]
	v_lshl_add_u64 v[24:25], v[2:3], 0, v[24:25]
	v_lshl_add_u64 v[26:27], v[2:3], 0, v[26:27]
	v_lshl_add_u64 v[28:29], v[2:3], 0, v[28:29]
	v_lshl_add_u64 v[30:31], v[2:3], 0, v[30:31]
	v_lshl_add_u64 v[32:33], v[2:3], 0, v[32:33]
	v_lshl_add_u64 v[34:35], v[2:3], 0, v[34:35]
	v_lshl_add_u64 v[52:53], v[2:3], 0, v[36:37]
	v_lshl_add_u64 v[38:39], v[2:3], 0, v[38:39]
	v_lshl_add_u64 v[40:41], v[2:3], 0, v[40:41]
	v_lshl_add_u64 v[42:43], v[2:3], 0, v[42:43]
	v_lshl_add_u64 v[44:45], v[2:3], 0, v[44:45]
	global_load_dwordx2 v[54:55], v[6:7], off
	global_load_dwordx2 v[56:57], v[16:17], off
	;; [unrolled: 1-line block ×15, first 2 shown]
                                        ; kill: killed $vgpr40_vgpr41
                                        ; kill: killed $vgpr30_vgpr31
                                        ; kill: killed $vgpr50_vgpr51
                                        ; kill: killed $vgpr42_vgpr43
                                        ; kill: killed $vgpr32_vgpr33
                                        ; kill: killed $vgpr34_vgpr35
                                        ; kill: killed $vgpr52_vgpr53
                                        ; kill: killed $vgpr22_vgpr23
                                        ; kill: killed $vgpr24_vgpr25
                                        ; kill: killed $vgpr6_vgpr7
                                        ; kill: killed $vgpr26_vgpr27
                                        ; kill: killed $vgpr16_vgpr17
                                        ; kill: killed $vgpr38_vgpr39
                                        ; kill: killed $vgpr28_vgpr29
                                        ; kill: killed $vgpr18_vgpr19
	global_load_dwordx2 v[6:7], v[44:45], off
	v_or_b32_e32 v16, 0x5800, v4
	v_mov_b32_e32 v17, v1
	v_or_b32_e32 v48, 0x5400, v4
	v_mov_b32_e32 v49, v1
	v_lshl_add_u64 v[46:47], v[2:3], 0, v[46:47]
	v_lshl_add_u64 v[16:17], v[2:3], 0, v[16:17]
	v_or_b32_e32 v18, 0x5c00, v4
	v_mov_b32_e32 v19, v1
	v_lshl_add_u64 v[48:49], v[2:3], 0, v[48:49]
	v_lshl_add_u64 v[22:23], v[2:3], 0, v[18:19]
	global_load_dwordx2 v[24:25], v[46:47], off
	global_load_dwordx2 v[26:27], v[48:49], off
	;; [unrolled: 1-line block ×4, first 2 shown]
	v_or_b32_e32 v16, 0x6000, v4
	v_mov_b32_e32 v17, v1
	v_lshl_add_u64 v[16:17], v[2:3], 0, v[16:17]
	v_or_b32_e32 v22, 0x6400, v4
	v_mov_b32_e32 v23, v1
	v_or_b32_e32 v32, 0x6800, v4
	v_mov_b32_e32 v33, v1
	;; [unrolled: 2-line block ×3, first 2 shown]
	v_lshl_add_u64 v[22:23], v[2:3], 0, v[22:23]
	v_lshl_add_u64 v[32:33], v[2:3], 0, v[32:33]
	v_lshl_add_u64 v[34:35], v[2:3], 0, v[34:35]
	global_load_dwordx2 v[38:39], v[16:17], off
	global_load_dwordx2 v[40:41], v[22:23], off
	;; [unrolled: 1-line block ×4, first 2 shown]
	v_or_b32_e32 v16, 0x7000, v4
	v_mov_b32_e32 v17, v1
	v_lshl_add_u64 v[16:17], v[2:3], 0, v[16:17]
	v_or_b32_e32 v22, 0x7400, v4
	v_mov_b32_e32 v23, v1
	v_lshl_add_u64 v[22:23], v[2:3], 0, v[22:23]
	global_load_dwordx2 v[32:33], v[16:17], off
	global_load_dwordx2 v[34:35], v[22:23], off
	v_add_u32_e32 v4, 0, v4
	v_add_u32_e32 v5, 0, v20
	s_waitcnt vmcnt(28)
	ds_write2st64_b64 v4, v[8:9], v[10:11] offset1:2
	s_waitcnt vmcnt(26)
	ds_write2st64_b64 v4, v[12:13], v[14:15] offset0:4 offset1:6
	s_waitcnt vmcnt(24)
	ds_write2st64_b64 v4, v[54:55], v[56:57] offset0:8 offset1:10
	s_waitcnt vmcnt(22)
	ds_write_b64 v5, v[64:65]
	s_waitcnt vmcnt(21)
	ds_write2st64_b64 v4, v[62:63], v[66:67] offset0:12 offset1:16
	s_waitcnt vmcnt(19)
	ds_write2st64_b64 v4, v[68:69], v[70:71] offset0:18 offset1:20
	;; [unrolled: 2-line block ×4, first 2 shown]
	v_add_u32_e32 v5, 0, v36
	s_movk_i32 s4, 0x7f
	s_waitcnt vmcnt(14)
	ds_write_b64 v5, v[80:81]
	s_waitcnt vmcnt(12)
	ds_write2st64_b64 v4, v[82:83], v[84:85] offset0:32 offset1:34
	s_waitcnt vmcnt(10)
	ds_write2st64_b64 v4, v[86:87], v[6:7] offset0:36 offset1:38
	;; [unrolled: 2-line block ×3, first 2 shown]
	v_add_u32_e32 v5, 0, v18
	v_cmp_eq_u32_e32 vcc, s4, v0
	v_mov_b32_e32 v62, v0
	v_mov_b64_e32 v[96:97], v[0:1]
	s_waitcnt vmcnt(6)
	ds_write_b64 v5, v[30:31]
	s_waitcnt vmcnt(5)
	ds_write2st64_b64 v4, v[28:29], v[38:39] offset0:44 offset1:48
	s_waitcnt vmcnt(3)
	ds_write2st64_b64 v4, v[40:41], v[42:43] offset0:50 offset1:52
	;; [unrolled: 2-line block ×3, first 2 shown]
	s_waitcnt vmcnt(0)
	ds_write_b64 v4, v[34:35] offset:29696
	s_and_saveexec_b64 s[4:5], vcc
	s_cbranch_execz .LBB0_14
; %bb.13:
	v_add_co_u32_e32 v2, vcc, 0x7000, v2
	v_mov_b32_e32 v62, 0x7f
	s_nop 0
	v_addc_co_u32_e32 v3, vcc, 0, v3, vcc
	global_load_dwordx2 v[2:3], v[2:3], off offset:2048
	v_mov_b64_e32 v[96:97], 0x7f
	s_waitcnt vmcnt(0)
	ds_write_b64 v1, v[2:3] offset:30720
.LBB0_14:
	s_or_b64 exec, exec, s[4:5]
	v_mov_b32_e32 v64, v62
.LBB0_15:
	s_or_b64 exec, exec, s[10:11]
	v_lshlrev_b32_e32 v1, 3, v62
	v_add_u32_e32 v65, 0, v1
	s_waitcnt lgkmcnt(0)
	s_barrier
	v_sub_u32_e32 v1, 0, v1
	ds_read_b32 v2, v65
	ds_read_b32 v3, v1 offset:30720
	s_add_u32 s4, s8, 0x77b0
	s_addc_u32 s5, s9, 0
	v_cmp_ne_u32_e32 vcc, 0, v62
	s_waitcnt lgkmcnt(0)
	v_add_f32_e32 v6, v3, v2
	v_sub_f32_e32 v7, v2, v3
	s_and_saveexec_b64 s[10:11], vcc
	s_xor_b64 s[10:11], exec, s[10:11]
	s_cbranch_execz .LBB0_17
; %bb.16:
	v_lshl_add_u64 v[2:3], v[96:97], 3, s[4:5]
	global_load_dwordx2 v[2:3], v[2:3], off
	ds_read_b32 v9, v1 offset:30724
	ds_read_b32 v10, v65 offset:4
	v_mov_b32_e32 v4, v7
	v_mov_b32_e32 v8, v6
	;; [unrolled: 1-line block ×3, first 2 shown]
	s_waitcnt lgkmcnt(0)
	v_add_f32_e32 v5, v9, v10
	v_sub_f32_e32 v9, v10, v9
	v_mov_b32_e32 v10, v5
	s_waitcnt vmcnt(0)
	v_pk_mul_f32 v[12:13], v[4:5], v[2:3] op_sel:[0,1]
	v_pk_fma_f32 v[4:5], v[4:5], v[2:3], v[8:9] op_sel:[0,1,0]
	v_mov_b32_e32 v7, v13
	v_pk_fma_f32 v[14:15], v[2:3], v[10:11], v[4:5] neg_lo:[1,0,0] neg_hi:[1,0,0]
	v_pk_fma_f32 v[4:5], v[2:3], v[10:11], v[4:5] op_sel_hi:[0,1,1]
	v_mov_b32_e32 v13, v9
	v_mov_b32_e32 v15, v5
	v_pk_add_f32 v[4:5], v[6:7], v[12:13] neg_lo:[0,1] neg_hi:[0,1]
	v_mov_b64_e32 v[6:7], v[14:15]
	v_pk_fma_f32 v[2:3], v[2:3], v[10:11], v[4:5] op_sel_hi:[0,1,1]
	ds_write_b64 v1, v[2:3] offset:30720
.LBB0_17:
	s_andn2_saveexec_b64 s[10:11], s[10:11]
	s_cbranch_execz .LBB0_19
; %bb.18:
	v_mov_b32_e32 v4, 0
	ds_read_b64 v[2:3], v4 offset:15360
	s_mov_b32 s12, 2.0
	s_mov_b32 s13, -2.0
	s_waitcnt lgkmcnt(0)
	v_pk_mul_f32 v[2:3], v[2:3], s[12:13]
	ds_write_b64 v4, v[2:3] offset:15360
.LBB0_19:
	s_or_b64 exec, exec, s[10:11]
	v_mov_b32_e32 v63, 0
	v_lshlrev_b64 v[98:99], 3, v[62:63]
	v_lshl_add_u64 v[2:3], s[4:5], 0, v[98:99]
	global_load_dwordx2 v[2:3], v[2:3], off offset:1024
	v_or_b32_e32 v112, 0x100, v62
	v_mov_b32_e32 v113, v63
	v_lshlrev_b64 v[92:93], 3, v[112:113]
	v_lshl_add_u64 v[4:5], s[4:5], 0, v[92:93]
	global_load_dwordx2 v[4:5], v[4:5], off
	v_or_b32_e32 v70, 0x180, v62
	v_mov_b32_e32 v71, v63
	v_lshlrev_b64 v[68:69], 3, v[70:71]
	v_lshl_add_u64 v[8:9], s[4:5], 0, v[68:69]
	global_load_dwordx2 v[8:9], v[8:9], off
	v_or_b32_e32 v100, 0x200, v62
	v_mov_b32_e32 v101, v63
	v_lshlrev_b64 v[74:75], 3, v[100:101]
	ds_write_b64 v65, v[6:7]
	v_lshl_add_u64 v[6:7], s[4:5], 0, v[74:75]
	ds_read_b64 v[10:11], v65 offset:1024
	ds_read_b64 v[12:13], v1 offset:29696
	global_load_dwordx2 v[6:7], v[6:7], off
	v_or_b32_e32 v104, 0x280, v62
	v_mov_b32_e32 v105, v63
	v_lshlrev_b64 v[80:81], 3, v[104:105]
	s_waitcnt lgkmcnt(0)
	v_pk_add_f32 v[14:15], v[10:11], v[12:13] neg_lo:[0,1] neg_hi:[0,1]
	v_pk_add_f32 v[10:11], v[10:11], v[12:13]
	v_mov_b32_e32 v12, v14
	v_mov_b32_e32 v13, v11
	;; [unrolled: 1-line block ×6, first 2 shown]
	v_lshl_add_u32 v113, v112, 3, 0
	v_or_b32_e32 v102, 0x300, v62
	v_mov_b32_e32 v103, v63
	v_lshl_add_u32 v71, v70, 3, 0
	v_lshlrev_b64 v[78:79], 3, v[102:103]
	v_or_b32_e32 v67, 0x380, v0
	v_lshlrev_b32_e32 v66, 3, v67
	v_lshl_add_u32 v101, v104, 3, 0
	v_or_b32_e32 v94, 0x400, v62
	v_mov_b32_e32 v95, v63
	v_or_b32_e32 v106, 0x480, v62
	v_lshlrev_b64 v[72:73], 3, v[94:95]
	v_mov_b32_e32 v107, v63
	v_lshlrev_b64 v[76:77], 3, v[106:107]
	v_lshl_add_u32 v95, v102, 3, 0
	v_add_u32_e32 v103, 0, v66
	v_or_b32_e32 v108, 0x700, v62
	v_mov_b32_e32 v109, v63
	v_lshlrev_b64 v[82:83], 3, v[108:109]
	v_or_b32_e32 v110, 0x500, v62
	v_mov_b32_e32 v111, v63
	v_lshlrev_b64 v[84:85], 3, v[110:111]
	v_lshl_add_u32 v105, v94, 3, 0
	v_or_b32_e32 v114, 0x580, v62
	v_mov_b32_e32 v115, v63
	v_lshlrev_b64 v[86:87], 3, v[114:115]
	v_or_b32_e32 v116, 0x600, v62
	v_mov_b32_e32 v117, v63
	v_lshlrev_b64 v[88:89], 3, v[116:117]
	v_lshl_add_u32 v107, v106, 3, 0
	v_or_b32_e32 v118, 0x680, v62
	v_mov_b32_e32 v119, v63
	v_lshlrev_b64 v[90:91], 3, v[118:119]
	v_lshl_add_u32 v109, v110, 3, 0
	v_lshl_add_u32 v111, v114, 3, 0
	;; [unrolled: 1-line block ×5, first 2 shown]
	s_mov_b32 s14, 0x3f737871
	s_mov_b32 s10, 0x3f167918
	;; [unrolled: 1-line block ×7, first 2 shown]
	s_waitcnt vmcnt(3)
	v_pk_mul_f32 v[20:21], v[12:13], v[2:3] op_sel:[0,1]
	v_pk_fma_f32 v[12:13], v[12:13], v[2:3], v[16:17] op_sel:[0,1,0]
	v_mov_b32_e32 v11, v21
	v_mov_b32_e32 v21, v15
	v_pk_fma_f32 v[16:17], v[2:3], v[18:19], v[12:13] neg_lo:[1,0,0] neg_hi:[1,0,0]
	v_pk_fma_f32 v[12:13], v[2:3], v[18:19], v[12:13] op_sel_hi:[0,1,1]
	v_pk_add_f32 v[10:11], v[10:11], v[20:21] neg_lo:[0,1] neg_hi:[0,1]
	v_mov_b32_e32 v17, v13
	v_pk_fma_f32 v[2:3], v[2:3], v[18:19], v[10:11] op_sel_hi:[0,1,1]
	ds_write_b64 v65, v[16:17] offset:1024
	ds_write_b64 v1, v[2:3] offset:29696
	v_lshl_add_u64 v[2:3], s[4:5], 0, v[80:81]
	ds_read_b64 v[10:11], v1 offset:28672
	ds_read_b64 v[12:13], v113
	global_load_dwordx2 v[2:3], v[2:3], off
	s_waitcnt lgkmcnt(0)
	v_pk_add_f32 v[14:15], v[12:13], v[10:11] neg_lo:[0,1] neg_hi:[0,1]
	v_pk_add_f32 v[10:11], v[12:13], v[10:11]
	v_mov_b32_e32 v12, v14
	v_mov_b32_e32 v13, v11
	;; [unrolled: 1-line block ×4, first 2 shown]
	s_waitcnt vmcnt(3)
	v_pk_mul_f32 v[20:21], v[12:13], v[4:5] op_sel:[0,1]
	v_mov_b32_e32 v18, v11
	v_mov_b32_e32 v19, v14
	v_pk_fma_f32 v[12:13], v[12:13], v[4:5], v[16:17] op_sel:[0,1,0]
	v_mov_b32_e32 v11, v21
	v_mov_b32_e32 v21, v15
	v_pk_fma_f32 v[16:17], v[4:5], v[18:19], v[12:13] neg_lo:[1,0,0] neg_hi:[1,0,0]
	v_pk_fma_f32 v[12:13], v[4:5], v[18:19], v[12:13] op_sel_hi:[0,1,1]
	v_pk_add_f32 v[10:11], v[10:11], v[20:21] neg_lo:[0,1] neg_hi:[0,1]
	v_mov_b32_e32 v17, v13
	v_pk_fma_f32 v[4:5], v[4:5], v[18:19], v[10:11] op_sel_hi:[0,1,1]
	ds_write_b64 v113, v[16:17]
	ds_write_b64 v1, v[4:5] offset:28672
	ds_read_b64 v[10:11], v1 offset:27648
	ds_read_b64 v[12:13], v71
	v_lshl_add_u64 v[4:5], s[4:5], 0, v[78:79]
	global_load_dwordx2 v[4:5], v[4:5], off
	s_waitcnt lgkmcnt(0)
	v_pk_add_f32 v[14:15], v[12:13], v[10:11] neg_lo:[0,1] neg_hi:[0,1]
	v_pk_add_f32 v[10:11], v[12:13], v[10:11]
	v_mov_b32_e32 v12, v14
	v_mov_b32_e32 v13, v11
	;; [unrolled: 1-line block ×4, first 2 shown]
	s_waitcnt vmcnt(3)
	v_pk_mul_f32 v[20:21], v[12:13], v[8:9] op_sel:[0,1]
	v_mov_b32_e32 v18, v11
	v_mov_b32_e32 v19, v14
	v_pk_fma_f32 v[12:13], v[12:13], v[8:9], v[16:17] op_sel:[0,1,0]
	v_mov_b32_e32 v11, v21
	v_mov_b32_e32 v21, v15
	v_pk_fma_f32 v[16:17], v[8:9], v[18:19], v[12:13] neg_lo:[1,0,0] neg_hi:[1,0,0]
	v_pk_fma_f32 v[12:13], v[8:9], v[18:19], v[12:13] op_sel_hi:[0,1,1]
	v_pk_add_f32 v[10:11], v[10:11], v[20:21] neg_lo:[0,1] neg_hi:[0,1]
	v_mov_b32_e32 v17, v13
	v_pk_fma_f32 v[8:9], v[8:9], v[18:19], v[10:11] op_sel_hi:[0,1,1]
	ds_write_b64 v71, v[16:17]
	ds_write_b64 v1, v[8:9] offset:27648
	ds_read_b64 v[8:9], v1 offset:26624
	ds_read_b64 v[10:11], v65 offset:4096
	global_load_dwordx2 v[12:13], v66, s[4:5]
	s_waitcnt lgkmcnt(0)
	v_pk_add_f32 v[14:15], v[10:11], v[8:9] neg_lo:[0,1] neg_hi:[0,1]
	v_pk_add_f32 v[8:9], v[10:11], v[8:9]
	v_mov_b32_e32 v10, v14
	v_mov_b32_e32 v11, v9
	;; [unrolled: 1-line block ×4, first 2 shown]
	s_waitcnt vmcnt(3)
	v_pk_mul_f32 v[20:21], v[10:11], v[6:7] op_sel:[0,1]
	v_mov_b32_e32 v18, v9
	v_mov_b32_e32 v19, v14
	v_pk_fma_f32 v[10:11], v[10:11], v[6:7], v[16:17] op_sel:[0,1,0]
	v_mov_b32_e32 v9, v21
	v_mov_b32_e32 v21, v15
	v_pk_fma_f32 v[16:17], v[6:7], v[18:19], v[10:11] neg_lo:[1,0,0] neg_hi:[1,0,0]
	v_pk_fma_f32 v[10:11], v[6:7], v[18:19], v[10:11] op_sel_hi:[0,1,1]
	v_pk_add_f32 v[8:9], v[8:9], v[20:21] neg_lo:[0,1] neg_hi:[0,1]
	v_mov_b32_e32 v17, v11
	v_pk_fma_f32 v[6:7], v[6:7], v[18:19], v[8:9] op_sel_hi:[0,1,1]
	ds_write_b64 v65, v[16:17] offset:4096
	ds_write_b64 v1, v[6:7] offset:26624
	ds_read_b64 v[6:7], v1 offset:25600
	ds_read_b64 v[8:9], v101
	v_lshl_add_u64 v[10:11], s[4:5], 0, v[72:73]
	v_lshl_add_u64 v[20:21], s[4:5], 0, v[76:77]
	s_waitcnt lgkmcnt(0)
	v_pk_add_f32 v[14:15], v[8:9], v[6:7] neg_lo:[0,1] neg_hi:[0,1]
	v_pk_add_f32 v[8:9], v[8:9], v[6:7]
	global_load_dwordx2 v[22:23], v[10:11], off
	global_load_dwordx2 v[6:7], v[20:21], off
	v_mov_b32_e32 v16, v14
	v_mov_b32_e32 v17, v9
	;; [unrolled: 1-line block ×4, first 2 shown]
	s_waitcnt vmcnt(4)
	v_pk_fma_f32 v[10:11], v[16:17], v[2:3], v[18:19] op_sel:[0,1,0]
	v_mov_b32_e32 v18, v9
	v_mov_b32_e32 v19, v14
	v_pk_fma_f32 v[20:21], v[2:3], v[18:19], v[10:11] neg_lo:[1,0,0] neg_hi:[1,0,0]
	v_pk_fma_f32 v[10:11], v[2:3], v[18:19], v[10:11] op_sel_hi:[0,1,1]
	v_mov_b32_e32 v21, v11
	v_pk_mul_f32 v[10:11], v[16:17], v[2:3] op_sel:[0,1]
	ds_write_b64 v101, v[20:21]
	v_mov_b32_e32 v9, v11
	v_mov_b32_e32 v11, v15
	v_pk_add_f32 v[8:9], v[8:9], v[10:11] neg_lo:[0,1] neg_hi:[0,1]
	v_lshl_add_u64 v[20:21], s[4:5], 0, v[88:89]
	v_pk_fma_f32 v[2:3], v[2:3], v[18:19], v[8:9] op_sel_hi:[0,1,1]
	ds_write_b64 v1, v[2:3] offset:25600
	ds_read_b64 v[2:3], v1 offset:24576
	ds_read_b64 v[8:9], v95
	s_waitcnt lgkmcnt(0)
	v_pk_add_f32 v[10:11], v[8:9], v[2:3] neg_lo:[0,1] neg_hi:[0,1]
	v_pk_add_f32 v[2:3], v[8:9], v[2:3]
	v_mov_b32_e32 v8, v10
	v_mov_b32_e32 v9, v3
	;; [unrolled: 1-line block ×4, first 2 shown]
	s_waitcnt vmcnt(3)
	v_pk_mul_f32 v[16:17], v[8:9], v[4:5] op_sel:[0,1]
	v_pk_fma_f32 v[8:9], v[8:9], v[4:5], v[14:15] op_sel:[0,1,0]
	v_mov_b32_e32 v14, v3
	v_mov_b32_e32 v15, v10
	;; [unrolled: 1-line block ×4, first 2 shown]
	v_pk_fma_f32 v[18:19], v[4:5], v[14:15], v[8:9] neg_lo:[1,0,0] neg_hi:[1,0,0]
	v_pk_fma_f32 v[8:9], v[4:5], v[14:15], v[8:9] op_sel_hi:[0,1,1]
	v_pk_add_f32 v[2:3], v[2:3], v[16:17] neg_lo:[0,1] neg_hi:[0,1]
	v_mov_b32_e32 v19, v9
	v_pk_fma_f32 v[2:3], v[4:5], v[14:15], v[2:3] op_sel_hi:[0,1,1]
	ds_write_b64 v95, v[18:19]
	ds_write_b64 v1, v[2:3] offset:24576
	ds_read_b64 v[2:3], v1 offset:23552
	ds_read_b64 v[4:5], v103
	v_lshl_add_u64 v[14:15], s[4:5], 0, v[82:83]
	global_load_dwordx2 v[14:15], v[14:15], off
	s_waitcnt lgkmcnt(0)
	v_pk_add_f32 v[8:9], v[4:5], v[2:3] neg_lo:[0,1] neg_hi:[0,1]
	v_pk_add_f32 v[2:3], v[4:5], v[2:3]
	v_mov_b32_e32 v4, v8
	v_mov_b32_e32 v5, v3
	;; [unrolled: 1-line block ×4, first 2 shown]
	s_waitcnt vmcnt(3)
	v_pk_fma_f32 v[10:11], v[4:5], v[12:13], v[10:11] op_sel:[0,1,0]
	v_pk_mul_f32 v[4:5], v[4:5], v[12:13] op_sel:[0,1]
	v_mov_b32_e32 v16, v3
	v_mov_b32_e32 v17, v8
	;; [unrolled: 1-line block ×4, first 2 shown]
	v_pk_add_f32 v[2:3], v[2:3], v[4:5] neg_lo:[0,1] neg_hi:[0,1]
	v_pk_fma_f32 v[4:5], v[12:13], v[16:17], v[10:11] neg_lo:[1,0,0] neg_hi:[1,0,0]
	v_pk_fma_f32 v[8:9], v[12:13], v[16:17], v[10:11] op_sel_hi:[0,1,1]
	v_pk_fma_f32 v[2:3], v[12:13], v[16:17], v[2:3] op_sel_hi:[0,1,1]
	v_mov_b32_e32 v5, v9
	ds_write_b64 v103, v[4:5]
	ds_write_b64 v1, v[2:3] offset:23552
	v_lshl_add_u64 v[2:3], s[4:5], 0, v[84:85]
	global_load_dwordx2 v[2:3], v[2:3], off
	ds_read_b64 v[4:5], v1 offset:22528
	ds_read_b64 v[8:9], v105
	s_waitcnt lgkmcnt(0)
	v_pk_add_f32 v[10:11], v[8:9], v[4:5] neg_lo:[0,1] neg_hi:[0,1]
	v_pk_add_f32 v[4:5], v[8:9], v[4:5]
	v_mov_b32_e32 v8, v10
	v_mov_b32_e32 v9, v5
	;; [unrolled: 1-line block ×4, first 2 shown]
	s_waitcnt vmcnt(3)
	v_pk_fma_f32 v[12:13], v[8:9], v[22:23], v[12:13] op_sel:[0,1,0]
	v_pk_mul_f32 v[8:9], v[8:9], v[22:23] op_sel:[0,1]
	v_mov_b32_e32 v16, v5
	v_mov_b32_e32 v17, v10
	;; [unrolled: 1-line block ×4, first 2 shown]
	v_pk_add_f32 v[4:5], v[4:5], v[8:9] neg_lo:[0,1] neg_hi:[0,1]
	v_pk_fma_f32 v[8:9], v[22:23], v[16:17], v[12:13] neg_lo:[1,0,0] neg_hi:[1,0,0]
	v_pk_fma_f32 v[10:11], v[22:23], v[16:17], v[12:13] op_sel_hi:[0,1,1]
	v_lshl_add_u64 v[12:13], s[4:5], 0, v[86:87]
	global_load_dwordx2 v[12:13], v[12:13], off
	v_mov_b32_e32 v9, v11
	v_pk_fma_f32 v[4:5], v[22:23], v[16:17], v[4:5] op_sel_hi:[0,1,1]
	ds_write_b64 v105, v[8:9]
	ds_write_b64 v1, v[4:5] offset:22528
	ds_read_b64 v[4:5], v1 offset:21504
	ds_read_b64 v[8:9], v107
	global_load_dwordx2 v[20:21], v[20:21], off
	s_waitcnt lgkmcnt(0)
	v_pk_add_f32 v[10:11], v[8:9], v[4:5] neg_lo:[0,1] neg_hi:[0,1]
	v_pk_add_f32 v[4:5], v[8:9], v[4:5]
	v_mov_b32_e32 v8, v10
	v_mov_b32_e32 v9, v5
	;; [unrolled: 1-line block ×4, first 2 shown]
	s_waitcnt vmcnt(4)
	v_pk_fma_f32 v[16:17], v[8:9], v[6:7], v[16:17] op_sel:[0,1,0]
	v_pk_mul_f32 v[8:9], v[8:9], v[6:7] op_sel:[0,1]
	v_mov_b32_e32 v18, v5
	v_mov_b32_e32 v19, v10
	;; [unrolled: 1-line block ×4, first 2 shown]
	v_pk_add_f32 v[4:5], v[4:5], v[8:9] neg_lo:[0,1] neg_hi:[0,1]
	v_pk_fma_f32 v[8:9], v[6:7], v[18:19], v[16:17] neg_lo:[1,0,0] neg_hi:[1,0,0]
	v_pk_fma_f32 v[10:11], v[6:7], v[18:19], v[16:17] op_sel_hi:[0,1,1]
	v_mov_b32_e32 v9, v11
	v_pk_fma_f32 v[4:5], v[6:7], v[18:19], v[4:5] op_sel_hi:[0,1,1]
	ds_write_b64 v107, v[8:9]
	ds_write_b64 v1, v[4:5] offset:21504
	v_lshl_add_u64 v[10:11], s[4:5], 0, v[90:91]
	ds_read_b64 v[4:5], v1 offset:20480
	ds_read_b64 v[6:7], v109
	global_load_dwordx2 v[10:11], v[10:11], off
	s_mov_b32 s4, 0x3f4f1bbd
	s_waitcnt lgkmcnt(0)
	v_pk_add_f32 v[8:9], v[6:7], v[4:5] neg_lo:[0,1] neg_hi:[0,1]
	v_pk_add_f32 v[4:5], v[6:7], v[4:5]
	v_mov_b32_e32 v6, v8
	v_mov_b32_e32 v7, v5
	v_mov_b32_e32 v16, v4
	v_mov_b32_e32 v17, v9
	v_mov_b32_e32 v18, v5
	v_mov_b32_e32 v19, v8
	s_waitcnt vmcnt(3)
	v_pk_fma_f32 v[16:17], v[6:7], v[2:3], v[16:17] op_sel:[0,1,0]
	v_pk_mul_f32 v[6:7], v[6:7], v[2:3] op_sel:[0,1]
	s_nop 0
	v_mov_b32_e32 v5, v7
	v_mov_b32_e32 v7, v9
	v_pk_add_f32 v[4:5], v[4:5], v[6:7] neg_lo:[0,1] neg_hi:[0,1]
	v_pk_fma_f32 v[6:7], v[2:3], v[18:19], v[16:17] neg_lo:[1,0,0] neg_hi:[1,0,0]
	v_pk_fma_f32 v[8:9], v[2:3], v[18:19], v[16:17] op_sel_hi:[0,1,1]
	v_mov_b32_e32 v7, v9
	v_pk_fma_f32 v[2:3], v[2:3], v[18:19], v[4:5] op_sel_hi:[0,1,1]
	ds_write_b64 v109, v[6:7]
	ds_write_b64 v1, v[2:3] offset:20480
	ds_read_b64 v[2:3], v1 offset:19456
	ds_read_b64 v[4:5], v111
	s_waitcnt lgkmcnt(0)
	v_pk_add_f32 v[6:7], v[4:5], v[2:3] neg_lo:[0,1] neg_hi:[0,1]
	v_pk_add_f32 v[2:3], v[4:5], v[2:3]
	v_mov_b32_e32 v4, v6
	v_mov_b32_e32 v5, v3
	v_mov_b32_e32 v8, v2
	v_mov_b32_e32 v9, v7
	s_waitcnt vmcnt(2)
	v_pk_fma_f32 v[8:9], v[4:5], v[12:13], v[8:9] op_sel:[0,1,0]
	v_pk_mul_f32 v[4:5], v[4:5], v[12:13] op_sel:[0,1]
	v_mov_b32_e32 v16, v3
	v_mov_b32_e32 v17, v6
	v_mov_b32_e32 v3, v5
	v_mov_b32_e32 v5, v7
	v_pk_add_f32 v[2:3], v[2:3], v[4:5] neg_lo:[0,1] neg_hi:[0,1]
	v_pk_fma_f32 v[4:5], v[12:13], v[16:17], v[8:9] neg_lo:[1,0,0] neg_hi:[1,0,0]
	v_pk_fma_f32 v[6:7], v[12:13], v[16:17], v[8:9] op_sel_hi:[0,1,1]
	v_mov_b32_e32 v5, v7
	v_pk_fma_f32 v[2:3], v[12:13], v[16:17], v[2:3] op_sel_hi:[0,1,1]
	ds_write_b64 v111, v[4:5]
	ds_write_b64 v1, v[2:3] offset:19456
	ds_read_b64 v[2:3], v1 offset:18432
	ds_read_b64 v[4:5], v115
	s_waitcnt lgkmcnt(0)
	v_pk_add_f32 v[6:7], v[4:5], v[2:3] neg_lo:[0,1] neg_hi:[0,1]
	v_pk_add_f32 v[2:3], v[4:5], v[2:3]
	v_mov_b32_e32 v4, v6
	v_mov_b32_e32 v5, v3
	v_mov_b32_e32 v8, v2
	v_mov_b32_e32 v9, v7
	s_waitcnt vmcnt(1)
	v_pk_fma_f32 v[8:9], v[4:5], v[20:21], v[8:9] op_sel:[0,1,0]
	v_pk_mul_f32 v[4:5], v[4:5], v[20:21] op_sel:[0,1]
	v_mov_b32_e32 v12, v3
	v_mov_b32_e32 v13, v6
	;; [unrolled: 23-line block ×3, first 2 shown]
	v_mov_b32_e32 v3, v5
	v_mov_b32_e32 v5, v7
	v_pk_add_f32 v[2:3], v[2:3], v[4:5] neg_lo:[0,1] neg_hi:[0,1]
	v_pk_fma_f32 v[4:5], v[10:11], v[12:13], v[8:9] neg_lo:[1,0,0] neg_hi:[1,0,0]
	v_pk_fma_f32 v[6:7], v[10:11], v[12:13], v[8:9] op_sel_hi:[0,1,1]
	v_mov_b32_e32 v5, v7
	v_pk_fma_f32 v[2:3], v[10:11], v[12:13], v[2:3] op_sel_hi:[0,1,1]
	ds_write_b64 v117, v[4:5]
	ds_write_b64 v1, v[2:3] offset:17408
	ds_read_b64 v[2:3], v1 offset:16384
	ds_read_b64 v[4:5], v119
	s_waitcnt lgkmcnt(0)
	v_pk_add_f32 v[6:7], v[4:5], v[2:3] neg_lo:[0,1] neg_hi:[0,1]
	v_pk_add_f32 v[2:3], v[4:5], v[2:3]
	v_mov_b32_e32 v4, v6
	v_mov_b32_e32 v5, v3
	;; [unrolled: 1-line block ×4, first 2 shown]
	v_pk_fma_f32 v[8:9], v[4:5], v[14:15], v[8:9] op_sel:[0,1,0]
	v_pk_mul_f32 v[4:5], v[4:5], v[14:15] op_sel:[0,1]
	v_mov_b32_e32 v10, v3
	v_mov_b32_e32 v11, v6
	;; [unrolled: 1-line block ×4, first 2 shown]
	v_pk_add_f32 v[2:3], v[2:3], v[4:5] neg_lo:[0,1] neg_hi:[0,1]
	v_pk_fma_f32 v[4:5], v[14:15], v[10:11], v[8:9] neg_lo:[1,0,0] neg_hi:[1,0,0]
	v_pk_fma_f32 v[6:7], v[14:15], v[10:11], v[8:9] op_sel_hi:[0,1,1]
	v_mov_b32_e32 v5, v7
	v_pk_fma_f32 v[2:3], v[14:15], v[10:11], v[2:3] op_sel_hi:[0,1,1]
	ds_write_b64 v119, v[4:5]
	ds_write_b64 v1, v[2:3] offset:16384
	s_waitcnt lgkmcnt(0)
	s_barrier
	s_barrier
	ds_read2st64_b64 v[6:9], v65 offset0:12 offset1:14
	ds_read2st64_b64 v[10:13], v65 offset0:24 offset1:26
	;; [unrolled: 1-line block ×8, first 2 shown]
	s_waitcnt lgkmcnt(4)
	v_pk_add_f32 v[4:5], v[52:53], v[56:57] neg_lo:[0,1] neg_hi:[0,1]
	v_mul_u32_u24_e32 v1, 10, v62
	s_waitcnt lgkmcnt(2)
	v_pk_add_f32 v[32:33], v[14:15], v[18:19] neg_lo:[0,1] neg_hi:[0,1]
	v_pk_add_f32 v[2:3], v[12:13], v[8:9] neg_lo:[0,1] neg_hi:[0,1]
	s_waitcnt lgkmcnt(0)
	v_pk_add_f32 v[34:35], v[22:23], v[26:27] neg_lo:[0,1] neg_hi:[0,1]
	v_pk_add_f32 v[30:31], v[2:3], v[4:5]
	ds_read2st64_b64 v[2:5], v65 offset0:8 offset1:10
	v_pk_add_f32 v[32:33], v[32:33], v[34:35]
	v_pk_add_f32 v[34:35], v[18:19], v[26:27]
	v_pk_add_f32 v[140:141], v[14:15], v[22:23] neg_lo:[0,1] neg_hi:[0,1]
	v_pk_add_f32 v[122:123], v[6:7], v[54:55] neg_lo:[0,1] neg_hi:[0,1]
	s_waitcnt lgkmcnt(0)
	v_pk_fma_f32 v[34:35], v[34:35], 0.5, v[2:3] op_sel_hi:[1,0,1] neg_lo:[1,0,0] neg_hi:[1,0,0]
	v_pk_mul_f32 v[36:37], v[140:141], s[14:15] op_sel_hi:[1,0]
	v_pk_add_f32 v[126:127], v[10:11], v[50:51] neg_lo:[0,1] neg_hi:[0,1]
	v_pk_add_f32 v[124:125], v[34:35], v[36:37] op_sel:[0,1] op_sel_hi:[1,0] neg_lo:[0,1] neg_hi:[0,1]
	v_pk_add_f32 v[130:131], v[34:35], v[36:37] op_sel:[0,1] op_sel_hi:[1,0]
	ds_read2st64_b64 v[38:41], v65 offset0:16 offset1:18
	ds_read2st64_b64 v[34:37], v65 offset0:52 offset1:54
	;; [unrolled: 1-line block ×4, first 2 shown]
	v_pk_mul_f32 v[120:121], v[126:127], s[10:11] op_sel_hi:[1,0]
	v_pk_mul_f32 v[128:129], v[122:123], s[10:11] op_sel_hi:[1,0]
	s_waitcnt lgkmcnt(2)
	v_pk_add_f32 v[142:143], v[40:41], v[36:37] neg_lo:[0,1] neg_hi:[0,1]
	v_pk_add_f32 v[146:147], v[18:19], v[26:27] neg_lo:[0,1] neg_hi:[0,1]
	s_waitcnt lgkmcnt(0)
	v_pk_add_f32 v[134:135], v[48:49], v[44:45] neg_lo:[0,1] neg_hi:[0,1]
	v_pk_mul_f32 v[132:133], v[142:143], s[10:11] op_sel_hi:[1,0]
	v_pk_mul_f32 v[144:145], v[134:135], s[10:11] op_sel_hi:[1,0]
	s_mov_b32 s11, s4
	v_pk_mul_f32 v[136:137], v[146:147], s[10:11] op_sel_hi:[1,0]
	v_lshl_add_u32 v1, v1, 3, 0
	v_pk_add_f32 v[130:131], v[130:131], v[136:137] op_sel:[0,1] op_sel_hi:[1,0] neg_lo:[0,1] neg_hi:[0,1]
	v_pk_add_f32 v[124:125], v[124:125], v[136:137] op_sel:[0,1] op_sel_hi:[1,0]
	v_mov_b32_e32 v137, v131
	v_mov_b32_e32 v136, v124
	v_pk_fma_f32 v[148:149], v[32:33], s[12:13], v[136:137] op_sel_hi:[1,0,1]
	ds_read2st64_b64 v[136:139], v65 offset1:2
	v_pk_mul_f32 v[150:151], v[148:149], s[14:15] op_sel_hi:[1,0]
	v_mov_b32_e32 v131, v125
	v_pk_fma_f32 v[152:153], v[148:149], s[12:13], v[150:151] op_sel:[0,0,1] op_sel_hi:[1,0,0]
	v_pk_fma_f32 v[148:149], v[148:149], s[12:13], v[150:151] op_sel:[0,0,1] op_sel_hi:[1,0,0] neg_lo:[0,0,1] neg_hi:[0,0,1]
	v_pk_add_f32 v[150:151], v[12:13], v[52:53] neg_lo:[0,1] neg_hi:[0,1]
	v_mov_b32_e32 v153, v149
	v_pk_add_f32 v[148:149], v[8:9], v[56:57]
	v_pk_mul_f32 v[154:155], v[150:151], s[14:15] op_sel_hi:[1,0]
	s_waitcnt lgkmcnt(0)
	v_pk_fma_f32 v[148:149], v[148:149], 0.5, v[138:139] op_sel_hi:[1,0,1] neg_lo:[1,0,0] neg_hi:[1,0,0]
	v_pk_fma_f32 v[32:33], v[32:33], s[12:13], v[130:131] op_sel_hi:[1,0,1]
	v_pk_add_f32 v[156:157], v[148:149], v[154:155] op_sel:[0,1] op_sel_hi:[1,0] neg_lo:[0,1] neg_hi:[0,1]
	v_pk_add_f32 v[148:149], v[148:149], v[154:155] op_sel:[0,1] op_sel_hi:[1,0]
	v_pk_add_f32 v[154:155], v[8:9], v[56:57] neg_lo:[0,1] neg_hi:[0,1]
	v_pk_mul_f32 v[124:125], v[32:33], s[12:13] op_sel_hi:[1,0]
	v_pk_mul_f32 v[158:159], v[154:155], s[10:11] op_sel_hi:[1,0]
	v_pk_fma_f32 v[124:125], v[32:33], s[16:17], v[124:125] op_sel:[0,0,1] op_sel_hi:[1,1,0] neg_lo:[0,0,1] neg_hi:[0,0,1]
	v_pk_add_f32 v[148:149], v[148:149], v[158:159] op_sel:[0,1] op_sel_hi:[1,0] neg_lo:[0,1] neg_hi:[0,1]
	v_pk_add_f32 v[156:157], v[156:157], v[158:159] op_sel:[0,1] op_sel_hi:[1,0]
	v_mov_b32_e32 v33, v149
	v_mov_b32_e32 v32, v156
	;; [unrolled: 1-line block ×3, first 2 shown]
	v_pk_fma_f32 v[156:157], v[30:31], s[12:13], v[32:33] op_sel_hi:[1,0,1]
	v_pk_fma_f32 v[130:131], v[30:31], s[12:13], v[148:149] op_sel_hi:[1,0,1]
	ds_read2st64_b64 v[30:33], v65 offset0:4 offset1:6
	v_add_u32_e32 v160, 0x2810, v1
	v_pk_add_f32 v[148:149], v[156:157], v[152:153]
	v_pk_add_f32 v[158:159], v[130:131], v[124:125] op_sel:[0,1] op_sel_hi:[1,0]
	s_waitcnt lgkmcnt(0)
	s_barrier
	ds_write2_b64 v160, v[148:149], v[158:159] offset1:1
	v_pk_add_f32 v[148:149], v[40:41], v[48:49] neg_lo:[0,1] neg_hi:[0,1]
	v_pk_add_f32 v[158:159], v[36:37], v[44:45] neg_lo:[0,1] neg_hi:[0,1]
	v_pk_mul_f32 v[142:143], v[142:143], s[14:15] op_sel_hi:[1,0]
	v_pk_add_f32 v[148:149], v[148:149], v[158:159]
	v_pk_add_f32 v[158:159], v[48:49], v[44:45]
	v_pk_mul_f32 v[154:155], v[154:155], s[14:15] op_sel_hi:[1,0]
	v_pk_fma_f32 v[158:159], v[158:159], 0.5, v[32:33] op_sel_hi:[1,0,1] neg_lo:[1,0,0] neg_hi:[1,0,0]
	v_pk_mul_f32 v[150:151], v[150:151], s[10:11] op_sel_hi:[1,0]
	v_pk_add_f32 v[160:161], v[158:159], v[142:143] op_sel:[0,1] op_sel_hi:[1,0]
	v_pk_add_f32 v[142:143], v[158:159], v[142:143] op_sel:[0,1] op_sel_hi:[1,0] neg_lo:[0,1] neg_hi:[0,1]
	v_pk_add_f32 v[158:159], v[144:145], v[160:161] op_sel:[1,0] op_sel_hi:[0,1]
	v_pk_add_f32 v[142:143], v[142:143], v[144:145] op_sel:[0,1] op_sel_hi:[1,0] neg_lo:[0,1] neg_hi:[0,1]
	v_pk_add_f32 v[144:145], v[8:9], v[12:13] neg_lo:[0,1] neg_hi:[0,1]
	v_pk_add_f32 v[160:161], v[56:57], v[52:53] neg_lo:[0,1] neg_hi:[0,1]
	v_pk_mul_f32 v[146:147], v[146:147], s[14:15] op_sel_hi:[1,0]
	v_pk_add_f32 v[144:145], v[144:145], v[160:161]
	v_pk_add_f32 v[160:161], v[12:13], v[52:53]
	v_pk_mul_f32 v[140:141], v[140:141], s[10:11] op_sel_hi:[1,0]
	v_pk_fma_f32 v[160:161], v[160:161], 0.5, v[138:139] op_sel_hi:[1,0,1] neg_lo:[1,0,0] neg_hi:[1,0,0]
	v_pk_add_f32 v[8:9], v[138:139], v[8:9]
	v_pk_add_f32 v[162:163], v[160:161], v[154:155] op_sel:[0,1] op_sel_hi:[1,0]
	v_pk_add_f32 v[154:155], v[160:161], v[154:155] op_sel:[0,1] op_sel_hi:[1,0] neg_lo:[0,1] neg_hi:[0,1]
	v_pk_add_f32 v[160:161], v[18:19], v[14:15] neg_lo:[0,1] neg_hi:[0,1]
	v_pk_add_f32 v[154:155], v[154:155], v[150:151] op_sel:[0,1] op_sel_hi:[1,0] neg_lo:[0,1] neg_hi:[0,1]
	v_pk_add_f32 v[150:151], v[162:163], v[150:151] op_sel:[0,1] op_sel_hi:[1,0]
	v_pk_add_f32 v[162:163], v[26:27], v[22:23] neg_lo:[0,1] neg_hi:[0,1]
	v_pk_add_f32 v[8:9], v[8:9], v[12:13]
	v_pk_add_f32 v[160:161], v[160:161], v[162:163]
	v_pk_add_f32 v[162:163], v[14:15], v[22:23]
	v_pk_add_f32 v[8:9], v[8:9], v[52:53]
	v_pk_fma_f32 v[162:163], v[162:163], 0.5, v[2:3] op_sel_hi:[1,0,1] neg_lo:[1,0,0] neg_hi:[1,0,0]
	v_pk_add_f32 v[2:3], v[2:3], v[18:19]
	v_pk_add_f32 v[164:165], v[162:163], v[146:147] op_sel:[0,1] op_sel_hi:[1,0]
	v_pk_add_f32 v[146:147], v[162:163], v[146:147] op_sel:[0,1] op_sel_hi:[1,0] neg_lo:[0,1] neg_hi:[0,1]
	v_pk_add_f32 v[162:163], v[140:141], v[164:165] op_sel:[1,0] op_sel_hi:[0,1]
	v_pk_add_f32 v[140:141], v[146:147], v[140:141] op_sel:[0,1] op_sel_hi:[1,0] neg_lo:[0,1] neg_hi:[0,1]
	v_pk_fma_f32 v[146:147], v[148:149], s[12:13], v[142:143] op_sel_hi:[1,0,1]
	v_mov_b32_e32 v143, v159
	v_pk_fma_f32 v[142:143], v[148:149], s[12:13], v[142:143] op_sel_hi:[1,0,1]
	v_pk_fma_f32 v[166:167], v[160:161], s[12:13], v[162:163] op_sel_hi:[1,0,1]
	v_pk_mul_f32 v[164:165], v[142:143], s[4:5] op_sel_hi:[1,0]
	s_mov_b32 s5, s10
	v_pk_mul_f32 v[166:167], v[166:167], s[4:5] op_sel_hi:[0,1]
	v_pk_fma_f32 v[168:169], v[160:161], s[12:13], v[140:141] op_sel_hi:[1,0,1]
	v_pk_add_f32 v[2:3], v[2:3], v[14:15]
	v_pk_fma_f32 v[170:171], v[168:169], s[10:11], v[166:167] op_sel:[1,0,0]
	v_pk_fma_f32 v[166:167], v[168:169], s[10:11], v[166:167] op_sel:[1,0,0] neg_lo:[0,0,1] neg_hi:[0,0,1]
	v_pk_add_f32 v[2:3], v[2:3], v[22:23]
	v_mov_b32_e32 v12, v150
	v_mov_b32_e32 v13, v155
	;; [unrolled: 1-line block ×3, first 2 shown]
	v_pk_add_f32 v[8:9], v[8:9], v[56:57]
	v_pk_add_f32 v[2:3], v[2:3], v[26:27]
	v_pk_fma_f32 v[12:13], v[144:145], s[12:13], v[12:13] op_sel_hi:[1,0,1]
	v_add_u32_e32 v22, 0x2800, v1
	v_pk_add_f32 v[14:15], v[8:9], v[2:3]
	v_pk_add_f32 v[18:19], v[12:13], v[170:171]
	v_mov_b32_e32 v141, v163
	ds_write2_b64 v22, v[14:15], v[18:19] offset1:1
	v_pk_fma_f32 v[18:19], v[160:161], s[12:13], v[140:141] op_sel_hi:[1,0,1]
	v_mov_b32_e32 v155, v151
	v_pk_mul_f32 v[22:23], v[18:19], s[4:5] op_sel_hi:[1,0]
	v_pk_fma_f32 v[14:15], v[144:145], s[12:13], v[154:155] op_sel_hi:[1,0,1]
	v_pk_fma_f32 v[18:19], v[18:19], s[18:19], v[22:23] op_sel:[0,0,1] op_sel_hi:[1,1,0] neg_lo:[0,0,1] neg_hi:[0,0,1]
	v_pk_add_f32 v[2:3], v[8:9], v[2:3] neg_lo:[0,1] neg_hi:[0,1]
	v_pk_add_f32 v[8:9], v[14:15], v[18:19] op_sel:[1,0] op_sel_hi:[0,1]
	v_mov_b32_e32 v22, v9
	v_mov_b32_e32 v23, v8
	v_add_u32_e32 v8, 0x2820, v1
	ds_write2_b64 v8, v[22:23], v[2:3] offset1:1
	v_pk_add_f32 v[2:3], v[12:13], v[170:171] neg_lo:[0,1] neg_hi:[0,1]
	v_pk_add_f32 v[8:9], v[156:157], v[152:153] neg_lo:[0,1] neg_hi:[0,1]
	v_add_u32_e32 v12, 0x2830, v1
	ds_write2_b64 v12, v[2:3], v[8:9] offset1:1
	v_pk_add_f32 v[2:3], v[136:137], v[6:7]
	v_pk_add_f32 v[8:9], v[10:11], v[50:51]
	;; [unrolled: 1-line block ×3, first 2 shown]
	v_pk_add_f32 v[12:13], v[6:7], v[10:11] neg_lo:[0,1] neg_hi:[0,1]
	v_pk_add_f32 v[10:11], v[10:11], v[6:7] neg_lo:[0,1] neg_hi:[0,1]
	;; [unrolled: 1-line block ×3, first 2 shown]
	v_pk_add_f32 v[2:3], v[2:3], v[50:51]
	v_pk_add_f32 v[22:23], v[54:55], v[50:51] neg_lo:[0,1] neg_hi:[0,1]
	v_pk_add_f32 v[10:11], v[10:11], v[26:27]
	v_pk_add_f32 v[26:27], v[48:49], v[40:41] neg_lo:[0,1] neg_hi:[0,1]
	v_pk_add_f32 v[50:51], v[44:45], v[36:37] neg_lo:[0,1] neg_hi:[0,1]
	v_pk_mul_f32 v[52:53], v[134:135], s[14:15] op_sel_hi:[1,0]
	v_pk_add_f32 v[26:27], v[26:27], v[50:51]
	v_pk_add_f32 v[50:51], v[40:41], v[36:37]
	;; [unrolled: 1-line block ×3, first 2 shown]
	v_pk_fma_f32 v[50:51], v[50:51], 0.5, v[32:33] op_sel_hi:[1,0,1] neg_lo:[1,0,0] neg_hi:[1,0,0]
	v_pk_add_f32 v[2:3], v[2:3], v[54:55]
	v_pk_add_f32 v[54:55], v[50:51], v[52:53] op_sel:[0,1] op_sel_hi:[1,0] neg_lo:[0,1] neg_hi:[0,1]
	v_pk_add_f32 v[50:51], v[50:51], v[52:53] op_sel:[0,1] op_sel_hi:[1,0]
	v_pk_add_f32 v[52:53], v[54:55], v[132:133] op_sel:[0,1] op_sel_hi:[1,0]
	v_pk_add_f32 v[50:51], v[50:51], v[132:133] op_sel:[0,1] op_sel_hi:[1,0] neg_lo:[0,1] neg_hi:[0,1]
	v_mov_b32_e32 v54, v52
	v_mov_b32_e32 v55, v51
	v_pk_fma_f32 v[54:55], v[26:27], s[12:13], v[54:55] op_sel_hi:[1,0,1]
	v_pk_fma_f32 v[6:7], v[6:7], 0.5, v[136:137] op_sel_hi:[1,0,1] neg_lo:[1,0,0] neg_hi:[1,0,0]
	v_pk_mul_f32 v[56:57], v[54:55], s[14:15] op_sel_hi:[1,0]
	v_mov_b32_e32 v51, v53
	v_pk_fma_f32 v[132:133], v[54:55], s[12:13], v[56:57] op_sel:[0,0,1] op_sel_hi:[1,0,0]
	v_pk_fma_f32 v[54:55], v[54:55], s[12:13], v[56:57] op_sel:[0,0,1] op_sel_hi:[1,0,0] neg_lo:[0,0,1] neg_hi:[0,0,1]
	v_pk_fma_f32 v[26:27], v[26:27], s[12:13], v[50:51] op_sel_hi:[1,0,1]
	v_mov_b32_e32 v133, v55
	v_pk_mul_f32 v[54:55], v[126:127], s[14:15] op_sel_hi:[1,0]
	v_pk_mul_f32 v[50:51], v[26:27], s[12:13] op_sel_hi:[1,0]
	v_pk_add_f32 v[56:57], v[6:7], v[54:55] op_sel:[0,1] op_sel_hi:[1,0] neg_lo:[0,1] neg_hi:[0,1]
	v_pk_add_f32 v[6:7], v[6:7], v[54:55] op_sel:[0,1] op_sel_hi:[1,0]
	v_pk_add_f32 v[54:55], v[56:57], v[128:129] op_sel:[0,1] op_sel_hi:[1,0]
	v_pk_add_f32 v[6:7], v[6:7], v[128:129] op_sel:[0,1] op_sel_hi:[1,0] neg_lo:[0,1] neg_hi:[0,1]
	v_pk_fma_f32 v[26:27], v[26:27], s[16:17], v[50:51] op_sel:[0,0,1] op_sel_hi:[1,1,0] neg_lo:[0,0,1] neg_hi:[0,0,1]
	v_mov_b32_e32 v50, v54
	v_mov_b32_e32 v51, v7
	;; [unrolled: 1-line block ×3, first 2 shown]
	v_pk_fma_f32 v[50:51], v[10:11], s[12:13], v[50:51] op_sel_hi:[1,0,1]
	v_pk_fma_f32 v[6:7], v[10:11], s[12:13], v[6:7] op_sel_hi:[1,0,1]
	v_pk_add_f32 v[10:11], v[50:51], v[132:133]
	v_pk_add_f32 v[52:53], v[6:7], v[26:27] op_sel:[0,1] op_sel_hi:[1,0]
	v_pk_fma_f32 v[8:9], v[8:9], 0.5, v[136:137] op_sel_hi:[1,0,1] neg_lo:[1,0,0] neg_hi:[1,0,0]
	ds_write2_b64 v1, v[10:11], v[52:53] offset0:2 offset1:3
	v_pk_add_f32 v[10:11], v[12:13], v[22:23]
	v_pk_mul_f32 v[12:13], v[122:123], s[14:15] op_sel_hi:[1,0]
	s_nop 0
	v_pk_add_f32 v[22:23], v[8:9], v[12:13] op_sel:[0,1] op_sel_hi:[1,0]
	v_pk_add_f32 v[8:9], v[8:9], v[12:13] op_sel:[0,1] op_sel_hi:[1,0] neg_lo:[0,1] neg_hi:[0,1]
	v_pk_add_f32 v[12:13], v[22:23], v[120:121] op_sel:[0,1] op_sel_hi:[1,0]
	v_pk_fma_f32 v[22:23], v[148:149], s[12:13], v[158:159] op_sel_hi:[1,0,1]
	v_pk_add_f32 v[8:9], v[8:9], v[120:121] op_sel:[0,1] op_sel_hi:[1,0] neg_lo:[0,1] neg_hi:[0,1]
	v_pk_mul_f32 v[22:23], v[22:23], s[4:5] op_sel_hi:[0,1]
	v_pk_fma_f32 v[52:53], v[146:147], s[10:11], v[22:23] op_sel:[1,0,0]
	v_pk_fma_f32 v[22:23], v[146:147], s[10:11], v[22:23] op_sel:[1,0,0] neg_lo:[0,0,1] neg_hi:[0,0,1]
	s_nop 0
	v_mov_b32_e32 v53, v23
	v_pk_add_f32 v[22:23], v[32:33], v[40:41]
	v_mov_b32_e32 v32, v12
	v_pk_add_f32 v[22:23], v[22:23], v[48:49]
	v_mov_b32_e32 v33, v9
	v_mov_b32_e32 v9, v13
	v_pk_add_f32 v[22:23], v[22:23], v[44:45]
	v_pk_fma_f32 v[32:33], v[10:11], s[12:13], v[32:33] op_sel_hi:[1,0,1]
	v_pk_fma_f32 v[8:9], v[10:11], s[12:13], v[8:9] op_sel_hi:[1,0,1]
	v_pk_fma_f32 v[10:11], v[142:143], s[18:19], v[164:165] op_sel:[0,0,1] op_sel_hi:[1,1,0] neg_lo:[0,0,1] neg_hi:[0,0,1]
	v_pk_add_f32 v[22:23], v[22:23], v[36:37]
	v_pk_add_f32 v[12:13], v[8:9], v[10:11] op_sel:[1,0] op_sel_hi:[0,1]
	v_pk_add_f32 v[36:37], v[2:3], v[22:23]
	v_pk_add_f32 v[2:3], v[2:3], v[22:23] neg_lo:[0,1] neg_hi:[0,1]
	v_mov_b32_e32 v22, v13
	v_mov_b32_e32 v23, v12
	ds_write2_b64 v1, v[22:23], v[2:3] offset0:4 offset1:5
	v_pk_add_f32 v[2:3], v[32:33], v[52:53] neg_lo:[0,1] neg_hi:[0,1]
	v_pk_add_f32 v[12:13], v[50:51], v[132:133] neg_lo:[0,1] neg_hi:[0,1]
	ds_write2_b64 v1, v[2:3], v[12:13] offset0:6 offset1:7
	v_pk_add_f32 v[2:3], v[6:7], v[26:27] op_sel:[0,1] op_sel_hi:[1,0] neg_lo:[0,1] neg_hi:[0,1]
	v_pk_add_f32 v[6:7], v[8:9], v[10:11] op_sel:[1,0] op_sel_hi:[0,1] neg_lo:[0,1] neg_hi:[0,1]
	v_pk_add_f32 v[40:41], v[32:33], v[52:53]
	v_mov_b32_e32 v8, v7
	v_mov_b32_e32 v9, v6
	v_pk_add_f32 v[6:7], v[14:15], v[18:19] op_sel:[1,0] op_sel_hi:[0,1] neg_lo:[0,1] neg_hi:[0,1]
	ds_write2_b64 v1, v[36:37], v[40:41] offset1:1
	ds_write2_b64 v1, v[2:3], v[8:9] offset0:8 offset1:9
	v_pk_add_f32 v[2:3], v[130:131], v[124:125] op_sel:[0,1] op_sel_hi:[1,0] neg_lo:[0,1] neg_hi:[0,1]
	v_mov_b32_e32 v8, v7
	v_mov_b32_e32 v9, v6
	v_add_u32_e32 v1, 0x2840, v1
	ds_write2_b64 v1, v[2:3], v[8:9] offset1:1
	v_pk_add_f32 v[2:3], v[30:31], v[38:39]
	v_pk_add_f32 v[32:33], v[4:5], v[20:21]
	;; [unrolled: 1-line block ×8, first 2 shown]
	v_pk_add_f32 v[40:41], v[16:17], v[24:25] neg_lo:[0,1] neg_hi:[0,1]
	v_pk_add_f32 v[32:33], v[32:33], v[24:25]
	v_pk_add_f32 v[8:9], v[46:47], v[42:43] neg_lo:[0,1] neg_hi:[0,1]
	v_pk_add_f32 v[10:11], v[38:39], v[46:47] neg_lo:[0,1] neg_hi:[0,1]
	;; [unrolled: 1-line block ×6, first 2 shown]
	v_pk_add_f32 v[2:3], v[2:3], v[34:35]
	v_pk_add_f32 v[34:35], v[20:21], v[28:29] neg_lo:[0,1] neg_hi:[0,1]
	v_pk_add_f32 v[38:39], v[16:17], v[20:21] neg_lo:[0,1] neg_hi:[0,1]
	;; [unrolled: 1-line block ×3, first 2 shown]
	v_pk_add_f32 v[16:17], v[16:17], v[24:25]
	v_pk_add_f32 v[42:43], v[24:25], v[28:29] neg_lo:[0,1] neg_hi:[0,1]
	v_pk_add_f32 v[24:25], v[28:29], v[24:25] neg_lo:[0,1] neg_hi:[0,1]
	v_pk_add_f32 v[28:29], v[32:33], v[28:29]
	v_pk_fma_f32 v[6:7], v[6:7], 0.5, v[30:31] op_sel_hi:[1,0,1] neg_lo:[1,0,0] neg_hi:[1,0,0]
	v_pk_fma_f32 v[18:19], v[18:19], 0.5, v[30:31] op_sel_hi:[1,0,1] neg_lo:[1,0,0] neg_hi:[1,0,0]
	;; [unrolled: 1-line block ×3, first 2 shown]
	v_pk_mul_f32 v[32:33], v[40:41], s[14:15] op_sel_hi:[1,0]
	v_pk_add_f32 v[12:13], v[12:13], v[26:27]
	v_pk_add_f32 v[36:37], v[30:31], v[32:33] op_sel:[0,1] op_sel_hi:[1,0] neg_lo:[0,1] neg_hi:[0,1]
	v_pk_add_f32 v[30:31], v[30:31], v[32:33] op_sel:[0,1] op_sel_hi:[1,0]
	v_pk_mul_f32 v[32:33], v[34:35], s[10:11] op_sel_hi:[1,0]
	v_pk_add_f32 v[26:27], v[38:39], v[42:43]
	v_pk_add_f32 v[30:31], v[30:31], v[32:33] op_sel:[0,1] op_sel_hi:[1,0] neg_lo:[0,1] neg_hi:[0,1]
	v_pk_add_f32 v[32:33], v[36:37], v[32:33] op_sel:[0,1] op_sel_hi:[1,0]
	v_mov_b32_e32 v37, v31
	v_mov_b32_e32 v36, v32
	v_pk_fma_f32 v[36:37], v[26:27], s[12:13], v[36:37] op_sel_hi:[1,0,1]
	v_mov_b32_e32 v31, v33
	v_pk_mul_f32 v[38:39], v[36:37], s[14:15] op_sel_hi:[1,0]
	v_pk_fma_f32 v[26:27], v[26:27], s[12:13], v[30:31] op_sel_hi:[1,0,1]
	v_pk_fma_f32 v[42:43], v[36:37], s[12:13], v[38:39] op_sel:[0,0,1] op_sel_hi:[1,0,0]
	v_pk_fma_f32 v[36:37], v[36:37], s[12:13], v[38:39] op_sel:[0,0,1] op_sel_hi:[1,0,0] neg_lo:[0,0,1] neg_hi:[0,0,1]
	v_pk_mul_f32 v[30:31], v[26:27], s[12:13] op_sel_hi:[1,0]
	v_mov_b32_e32 v43, v37
	v_pk_mul_f32 v[36:37], v[8:9], s[14:15] op_sel_hi:[1,0]
	v_pk_fma_f32 v[26:27], v[26:27], s[16:17], v[30:31] op_sel:[0,0,1] op_sel_hi:[1,1,0] neg_lo:[0,0,1] neg_hi:[0,0,1]
	v_pk_add_f32 v[38:39], v[18:19], v[36:37] op_sel:[0,1] op_sel_hi:[1,0] neg_lo:[0,1] neg_hi:[0,1]
	v_pk_add_f32 v[18:19], v[18:19], v[36:37] op_sel:[0,1] op_sel_hi:[1,0]
	v_pk_mul_f32 v[36:37], v[14:15], s[10:11] op_sel_hi:[1,0]
	v_pk_mul_f32 v[14:15], v[14:15], s[14:15] op_sel_hi:[1,0]
	v_pk_add_f32 v[18:19], v[18:19], v[36:37] op_sel:[0,1] op_sel_hi:[1,0] neg_lo:[0,1] neg_hi:[0,1]
	v_pk_add_f32 v[36:37], v[38:39], v[36:37] op_sel:[0,1] op_sel_hi:[1,0]
	v_mov_b32_e32 v31, v19
	v_mov_b32_e32 v30, v36
	;; [unrolled: 1-line block ×3, first 2 shown]
	v_pk_fma_f32 v[30:31], v[12:13], s[12:13], v[30:31] op_sel_hi:[1,0,1]
	v_pk_fma_f32 v[12:13], v[12:13], s[12:13], v[18:19] op_sel_hi:[1,0,1]
	v_mul_u32_u24_e32 v1, 10, v112
	v_pk_fma_f32 v[4:5], v[16:17], 0.5, v[4:5] op_sel_hi:[1,0,1] neg_lo:[1,0,0] neg_hi:[1,0,0]
	v_pk_add_f32 v[16:17], v[6:7], v[14:15] op_sel:[0,1] op_sel_hi:[1,0]
	v_pk_add_f32 v[6:7], v[6:7], v[14:15] op_sel:[0,1] op_sel_hi:[1,0] neg_lo:[0,1] neg_hi:[0,1]
	v_pk_mul_f32 v[8:9], v[8:9], s[10:11] op_sel_hi:[1,0]
	v_lshl_add_u32 v1, v1, 3, 0
	v_pk_add_f32 v[18:19], v[30:31], v[42:43]
	v_pk_add_f32 v[32:33], v[12:13], v[26:27] op_sel:[0,1] op_sel_hi:[1,0]
	v_pk_add_f32 v[6:7], v[6:7], v[8:9] op_sel:[0,1] op_sel_hi:[1,0] neg_lo:[0,1] neg_hi:[0,1]
	v_pk_add_f32 v[8:9], v[16:17], v[8:9] op_sel:[0,1] op_sel_hi:[1,0]
	v_pk_mul_f32 v[16:17], v[34:35], s[14:15] op_sel_hi:[1,0]
	ds_write2_b64 v1, v[18:19], v[32:33] offset0:2 offset1:3
	v_pk_add_f32 v[18:19], v[4:5], v[16:17] op_sel:[0,1] op_sel_hi:[1,0]
	v_pk_add_f32 v[4:5], v[4:5], v[16:17] op_sel:[0,1] op_sel_hi:[1,0] neg_lo:[0,1] neg_hi:[0,1]
	v_pk_mul_f32 v[16:17], v[40:41], s[10:11] op_sel_hi:[1,0]
	v_pk_add_f32 v[14:15], v[20:21], v[24:25]
	v_pk_add_f32 v[18:19], v[16:17], v[18:19] op_sel:[1,0] op_sel_hi:[0,1]
	v_pk_add_f32 v[4:5], v[4:5], v[16:17] op_sel:[0,1] op_sel_hi:[1,0] neg_lo:[0,1] neg_hi:[0,1]
	v_pk_fma_f32 v[16:17], v[14:15], s[12:13], v[18:19] op_sel_hi:[1,0,1]
	v_pk_fma_f32 v[20:21], v[14:15], s[12:13], v[4:5] op_sel_hi:[1,0,1]
	v_pk_mul_f32 v[16:17], v[16:17], s[4:5] op_sel_hi:[0,1]
	v_mov_b32_e32 v5, v19
	v_pk_add_f32 v[10:11], v[10:11], v[22:23]
	v_pk_fma_f32 v[22:23], v[20:21], s[10:11], v[16:17] op_sel:[1,0,0]
	v_pk_fma_f32 v[16:17], v[20:21], s[10:11], v[16:17] op_sel:[1,0,0] neg_lo:[0,0,1] neg_hi:[0,0,1]
	v_pk_fma_f32 v[4:5], v[14:15], s[12:13], v[4:5] op_sel_hi:[1,0,1]
	v_mov_b32_e32 v23, v17
	v_mov_b32_e32 v16, v8
	;; [unrolled: 1-line block ×4, first 2 shown]
	v_pk_mul_f32 v[8:9], v[4:5], s[4:5] op_sel_hi:[1,0]
	v_pk_fma_f32 v[6:7], v[10:11], s[12:13], v[6:7] op_sel_hi:[1,0,1]
	v_pk_fma_f32 v[4:5], v[4:5], s[18:19], v[8:9] op_sel:[0,0,1] op_sel_hi:[1,1,0] neg_lo:[0,0,1] neg_hi:[0,0,1]
	v_pk_fma_f32 v[16:17], v[10:11], s[12:13], v[16:17] op_sel_hi:[1,0,1]
	v_pk_add_f32 v[8:9], v[6:7], v[4:5] op_sel:[1,0] op_sel_hi:[0,1]
	v_pk_add_f32 v[20:21], v[2:3], v[28:29]
	v_pk_add_f32 v[2:3], v[2:3], v[28:29] neg_lo:[0,1] neg_hi:[0,1]
	v_mov_b32_e32 v10, v9
	v_mov_b32_e32 v11, v8
	ds_write2_b64 v1, v[10:11], v[2:3] offset0:4 offset1:5
	v_pk_add_f32 v[2:3], v[16:17], v[22:23] neg_lo:[0,1] neg_hi:[0,1]
	v_pk_add_f32 v[8:9], v[30:31], v[42:43] neg_lo:[0,1] neg_hi:[0,1]
	v_pk_add_f32 v[4:5], v[6:7], v[4:5] op_sel:[1,0] op_sel_hi:[0,1] neg_lo:[0,1] neg_hi:[0,1]
	v_pk_add_f32 v[24:25], v[16:17], v[22:23]
	ds_write2_b64 v1, v[2:3], v[8:9] offset0:6 offset1:7
	v_pk_add_f32 v[2:3], v[12:13], v[26:27] op_sel:[0,1] op_sel_hi:[1,0] neg_lo:[0,1] neg_hi:[0,1]
	v_mov_b32_e32 v6, v5
	v_mov_b32_e32 v7, v4
	ds_write2_b64 v1, v[20:21], v[24:25] offset1:1
	ds_write2_b64 v1, v[2:3], v[6:7] offset0:8 offset1:9
	s_mov_b32 s12, 0xffff
	v_mov_b32_e32 v1, 0x180
	v_bitop3_b32 v40, v62, s12, v1 bitop3:0xc8
	v_mul_u32_u24_e32 v1, 0xcccd, v40
	v_lshrrev_b32_e32 v44, 19, v1
	v_mul_lo_u16_e32 v1, 10, v44
	v_sub_u16_e32 v43, v70, v1
	v_mul_u32_u24_e32 v1, 5, v43
	v_lshlrev_b32_e32 v6, 3, v1
	v_mov_b32_e32 v1, 0x100
	v_bitop3_b32 v41, v62, s12, v1 bitop3:0xc8
	v_mul_u32_u24_e32 v1, 0xcccd, v41
	v_lshrrev_b32_e32 v48, 19, v1
	v_mul_lo_u16_e32 v1, 10, v48
	v_sub_u16_e32 v47, v112, v1
	v_mul_u32_u24_e32 v1, 5, v47
	v_lshlrev_b32_e32 v7, 3, v1
	v_mov_b32_e32 v1, 0x200
	v_bitop3_b32 v42, v62, s12, v1 bitop3:0xc8
	v_mul_u32_u24_e32 v1, 0xcccd, v42
	v_lshrrev_b32_e32 v45, 19, v1
	s_waitcnt lgkmcnt(0)
	s_barrier
	global_load_dwordx4 v[2:5], v6, s[8:9]
	global_load_dwordx4 v[16:19], v7, s[8:9]
	v_mul_lo_u16_e32 v1, 10, v45
	v_sub_u16_e32 v46, v100, v1
	v_mul_u32_u24_e32 v1, 5, v46
	v_lshlrev_b32_e32 v49, 3, v1
	s_movk_i32 s4, 0xcd
	v_or_b32_e32 v1, 0x80, v62
	v_mul_lo_u16_sdwa v8, v1, s4 dst_sel:DWORD dst_unused:UNUSED_PAD src0_sel:BYTE_0 src1_sel:DWORD
	v_lshrrev_b16_e32 v178, 11, v8
	v_mul_lo_u16_e32 v8, 10, v178
	v_sub_u16_e32 v179, v1, v8
	v_mov_b32_e32 v8, 5
	v_mul_u32_u24_sdwa v9, v179, v8 dst_sel:DWORD dst_unused:UNUSED_PAD src0_sel:BYTE_0 src1_sel:DWORD
	global_load_dwordx2 v[28:29], v49, s[8:9] offset:32
	global_load_dwordx2 v[32:33], v6, s[8:9] offset:32
	;; [unrolled: 1-line block ×3, first 2 shown]
	v_lshlrev_b32_e32 v158, 3, v9
	global_load_dwordx2 v[140:141], v158, s[8:9] offset:32
	v_mul_lo_u16_sdwa v9, v62, s4 dst_sel:DWORD dst_unused:UNUSED_PAD src0_sel:BYTE_0 src1_sel:DWORD
	v_lshrrev_b16_e32 v180, 11, v9
	v_mul_lo_u16_e32 v9, 10, v180
	v_sub_u16_e32 v181, v62, v9
	v_mul_u32_u24_sdwa v8, v181, v8 dst_sel:DWORD dst_unused:UNUSED_PAD src0_sel:BYTE_0 src1_sel:DWORD
	v_lshlrev_b32_e32 v8, 3, v8
	global_load_dwordx4 v[20:23], v8, s[8:9]
	global_load_dwordx2 v[142:143], v8, s[8:9] offset:32
	global_load_dwordx4 v[50:53], v49, s[8:9] offset:16
	global_load_dwordx4 v[54:57], v6, s[8:9] offset:16
	;; [unrolled: 1-line block ×4, first 2 shown]
	ds_read2st64_b64 v[10:13], v65 offset0:14 offset1:16
	ds_read2st64_b64 v[24:27], v65 offset0:24 offset1:26
	global_load_dwordx4 v[128:131], v8, s[8:9] offset:16
	ds_read2st64_b64 v[132:135], v65 offset0:56 offset1:58
	ds_read2st64_b64 v[136:139], v65 offset0:52 offset1:54
	s_mov_b32 s4, 0x3f5db3d7
	s_mov_b32 s5, 0xbf5db3d7
	s_mov_b32 s11, 0x5040100
	s_movk_i32 s10, 0x1e0
	s_waitcnt vmcnt(12) lgkmcnt(3)
	v_pk_mul_f32 v[8:9], v[12:13], v[2:3] op_sel:[0,1]
	s_nop 0
	v_pk_fma_f32 v[6:7], v[12:13], v[2:3], v[8:9] op_sel:[0,0,1] op_sel_hi:[1,1,0] neg_lo:[0,0,1] neg_hi:[0,0,1]
	v_pk_fma_f32 v[12:13], v[12:13], v[2:3], v[8:9] op_sel:[0,0,1] op_sel_hi:[1,0,0]
	v_mov_b32_e32 v2, v5
	s_waitcnt lgkmcnt(2)
	v_pk_mul_f32 v[2:3], v[26:27], v[2:3] op_sel_hi:[1,0]
	s_nop 0
	v_pk_fma_f32 v[8:9], v[26:27], v[4:5], v[2:3] op_sel:[0,0,1] op_sel_hi:[1,1,0] neg_lo:[0,0,1] neg_hi:[0,0,1]
	v_pk_fma_f32 v[14:15], v[26:27], v[4:5], v[2:3] op_sel:[0,0,1] op_sel_hi:[1,0,0]
	s_waitcnt vmcnt(11)
	v_pk_mul_f32 v[2:3], v[10:11], v[16:17] op_sel:[0,1]
	s_waitcnt vmcnt(10) lgkmcnt(1)
	v_pk_mul_f32 v[4:5], v[134:135], v[28:29] op_sel:[0,1]
	v_pk_fma_f32 v[26:27], v[10:11], v[16:17], v[2:3] op_sel:[0,0,1] op_sel_hi:[1,1,0] neg_lo:[0,0,1] neg_hi:[0,0,1]
	v_pk_fma_f32 v[34:35], v[10:11], v[16:17], v[2:3] op_sel:[0,0,1] op_sel_hi:[1,0,0]
	v_mov_b32_e32 v2, v19
	v_pk_mul_f32 v[2:3], v[24:25], v[2:3] op_sel_hi:[1,0]
	s_waitcnt vmcnt(9)
	v_pk_mul_f32 v[16:17], v[132:133], v[32:33] op_sel:[0,1]
	v_pk_fma_f32 v[30:31], v[24:25], v[18:19], v[2:3] op_sel:[0,0,1] op_sel_hi:[1,1,0] neg_lo:[0,0,1] neg_hi:[0,0,1]
	v_pk_fma_f32 v[36:37], v[24:25], v[18:19], v[2:3] op_sel:[0,0,1] op_sel_hi:[1,0,0]
	ds_read_b64 v[24:25], v101
	s_waitcnt vmcnt(8) lgkmcnt(1)
	v_pk_mul_f32 v[18:19], v[138:139], v[38:39] op_sel:[0,1]
	v_pk_fma_f32 v[2:3], v[134:135], v[28:29], v[4:5] op_sel:[0,0,1] op_sel_hi:[1,1,0] neg_lo:[0,0,1] neg_hi:[0,0,1]
	v_pk_fma_f32 v[4:5], v[134:135], v[28:29], v[4:5] op_sel:[0,0,1] op_sel_hi:[1,0,0]
	v_pk_fma_f32 v[28:29], v[138:139], v[38:39], v[18:19] op_sel:[0,0,1] op_sel_hi:[1,1,0] neg_lo:[0,0,1] neg_hi:[0,0,1]
	v_pk_fma_f32 v[144:145], v[138:139], v[38:39], v[18:19] op_sel:[0,0,1] op_sel_hi:[1,0,0]
	s_waitcnt vmcnt(7)
	v_pk_mul_f32 v[18:19], v[136:137], v[140:141] op_sel:[0,1]
	v_pk_fma_f32 v[10:11], v[132:133], v[32:33], v[16:17] op_sel:[0,0,1] op_sel_hi:[1,1,0] neg_lo:[0,0,1] neg_hi:[0,0,1]
	v_pk_fma_f32 v[146:147], v[136:137], v[140:141], v[18:19] op_sel:[0,0,1] op_sel_hi:[1,1,0] neg_lo:[0,0,1] neg_hi:[0,0,1]
	v_pk_fma_f32 v[148:149], v[136:137], v[140:141], v[18:19] op_sel:[0,0,1] op_sel_hi:[1,0,0]
	s_waitcnt vmcnt(6) lgkmcnt(0)
	v_pk_mul_f32 v[18:19], v[20:21], v[24:25] op_sel:[0,1]
	v_pk_fma_f32 v[16:17], v[132:133], v[32:33], v[16:17] op_sel:[0,0,1] op_sel_hi:[1,0,0]
	ds_read_b64 v[38:39], v109
	ds_read_b64 v[32:33], v71
	v_pk_fma_f32 v[150:151], v[20:21], v[24:25], v[18:19] op_sel:[0,0,1] op_sel_hi:[1,1,0] neg_lo:[0,0,1] neg_hi:[0,0,1]
	v_pk_fma_f32 v[152:153], v[20:21], v[24:25], v[18:19] op_sel:[0,0,1] op_sel_hi:[1,0,0]
	ds_read2st64_b64 v[18:21], v65 offset0:48 offset1:50
	v_mov_b32_e32 v4, v23
	s_waitcnt lgkmcnt(2)
	v_pk_mul_f32 v[24:25], v[38:39], v[4:5] op_sel_hi:[1,0]
	global_load_dwordx4 v[132:135], v158, s[8:9]
	v_pk_fma_f32 v[154:155], v[38:39], v[22:23], v[24:25] op_sel:[0,0,1] op_sel_hi:[1,1,0] neg_lo:[0,0,1] neg_hi:[0,0,1]
	v_pk_fma_f32 v[156:157], v[38:39], v[22:23], v[24:25] op_sel:[0,0,1] op_sel_hi:[1,0,0]
	s_waitcnt vmcnt(6) lgkmcnt(0)
	v_pk_mul_f32 v[22:23], v[20:21], v[142:143] op_sel:[0,1]
	ds_read2st64_b64 v[136:139], v65 offset0:36 offset1:38
	v_pk_fma_f32 v[158:159], v[20:21], v[142:143], v[22:23] op_sel:[0,0,1] op_sel_hi:[1,1,0] neg_lo:[0,0,1] neg_hi:[0,0,1]
	v_pk_fma_f32 v[160:161], v[20:21], v[142:143], v[22:23] op_sel:[0,0,1] op_sel_hi:[1,0,0]
	global_load_dwordx4 v[140:143], v49, s[8:9]
	s_waitcnt vmcnt(6)
	v_mov_b32_e32 v4, v53
	v_pk_mul_f32 v[22:23], v[18:19], v[4:5] op_sel_hi:[1,0]
	s_waitcnt lgkmcnt(0)
	v_pk_mul_f32 v[24:25], v[138:139], v[50:51] op_sel:[0,1]
	v_pk_fma_f32 v[20:21], v[18:19], v[52:53], v[22:23] op_sel:[0,0,1] op_sel_hi:[1,1,0] neg_lo:[0,0,1] neg_hi:[0,0,1]
	v_pk_fma_f32 v[22:23], v[18:19], v[52:53], v[22:23] op_sel:[0,0,1] op_sel_hi:[1,0,0]
	v_pk_fma_f32 v[18:19], v[138:139], v[50:51], v[24:25] op_sel:[0,0,1] op_sel_hi:[1,1,0] neg_lo:[0,0,1] neg_hi:[0,0,1]
	v_pk_fma_f32 v[24:25], v[138:139], v[50:51], v[24:25] op_sel:[0,0,1] op_sel_hi:[1,0,0]
	ds_read2st64_b64 v[50:53], v65 offset0:44 offset1:46
	s_waitcnt vmcnt(5)
	v_pk_mul_f32 v[138:139], v[136:137], v[54:55] op_sel:[0,1]
	v_mov_b32_e32 v4, v57
	v_pk_fma_f32 v[38:39], v[136:137], v[54:55], v[138:139] op_sel:[0,0,1] op_sel_hi:[1,1,0] neg_lo:[0,0,1] neg_hi:[0,0,1]
	v_pk_fma_f32 v[136:137], v[136:137], v[54:55], v[138:139] op_sel:[0,0,1] op_sel_hi:[1,0,0]
	s_waitcnt lgkmcnt(0)
	v_pk_mul_f32 v[54:55], v[52:53], v[4:5] op_sel_hi:[1,0]
	s_waitcnt vmcnt(4)
	v_mov_b32_e32 v4, v123
	v_pk_fma_f32 v[138:139], v[52:53], v[56:57], v[54:55] op_sel:[0,0,1] op_sel_hi:[1,1,0] neg_lo:[0,0,1] neg_hi:[0,0,1]
	v_pk_fma_f32 v[162:163], v[52:53], v[56:57], v[54:55] op_sel:[0,0,1] op_sel_hi:[1,0,0]
	ds_read2st64_b64 v[52:55], v65 offset0:32 offset1:34
	v_pk_mul_f32 v[56:57], v[50:51], v[4:5] op_sel_hi:[1,0]
	s_waitcnt vmcnt(3)
	v_mov_b32_e32 v4, v127
	v_pk_fma_f32 v[164:165], v[50:51], v[122:123], v[56:57] op_sel:[0,0,1] op_sel_hi:[1,1,0] neg_lo:[0,0,1] neg_hi:[0,0,1]
	v_pk_fma_f32 v[166:167], v[50:51], v[122:123], v[56:57] op_sel:[0,0,1] op_sel_hi:[1,0,0]
	s_waitcnt lgkmcnt(0)
	v_pk_mul_f32 v[50:51], v[54:55], v[120:121] op_sel:[0,1]
	v_mov_b32_e32 v155, v157
	v_pk_fma_f32 v[168:169], v[54:55], v[120:121], v[50:51] op_sel:[0,0,1] op_sel_hi:[1,1,0] neg_lo:[0,0,1] neg_hi:[0,0,1]
	v_pk_fma_f32 v[170:171], v[54:55], v[120:121], v[50:51] op_sel:[0,0,1] op_sel_hi:[1,0,0]
	ds_read2st64_b64 v[54:57], v65 offset0:40 offset1:42
	v_pk_mul_f32 v[50:51], v[52:53], v[124:125] op_sel:[0,1]
	v_mov_b32_e32 v151, v153
	v_pk_fma_f32 v[172:173], v[52:53], v[124:125], v[50:51] op_sel:[0,0,1] op_sel_hi:[1,1,0] neg_lo:[0,0,1] neg_hi:[0,0,1]
	v_pk_fma_f32 v[174:175], v[52:53], v[124:125], v[50:51] op_sel:[0,0,1] op_sel_hi:[1,0,0]
	s_waitcnt lgkmcnt(0)
	v_pk_mul_f32 v[50:51], v[56:57], v[4:5] op_sel_hi:[1,0]
	s_waitcnt vmcnt(2)
	v_mov_b32_e32 v4, v131
	v_pk_fma_f32 v[176:177], v[56:57], v[126:127], v[50:51] op_sel:[0,0,1] op_sel_hi:[1,1,0] neg_lo:[0,0,1] neg_hi:[0,0,1]
	v_pk_fma_f32 v[56:57], v[56:57], v[126:127], v[50:51] op_sel:[0,0,1] op_sel_hi:[1,0,0]
	ds_read2st64_b64 v[50:53], v65 offset0:28 offset1:30
	v_pk_mul_f32 v[120:121], v[54:55], v[4:5] op_sel_hi:[1,0]
	v_mov_b32_e32 v159, v161
	v_pk_fma_f32 v[122:123], v[54:55], v[130:131], v[120:121] op_sel:[0,0,1] op_sel_hi:[1,1,0] neg_lo:[0,0,1] neg_hi:[0,0,1]
	v_pk_fma_f32 v[120:121], v[54:55], v[130:131], v[120:121] op_sel:[0,0,1] op_sel_hi:[1,0,0]
	s_waitcnt lgkmcnt(0)
	v_pk_mul_f32 v[54:55], v[52:53], v[128:129] op_sel:[0,1]
	v_mov_b32_e32 v123, v121
	v_pk_fma_f32 v[124:125], v[52:53], v[128:129], v[54:55] op_sel:[0,0,1] op_sel_hi:[1,1,0] neg_lo:[0,0,1] neg_hi:[0,0,1]
	v_pk_fma_f32 v[126:127], v[52:53], v[128:129], v[54:55] op_sel:[0,0,1] op_sel_hi:[1,0,0]
	ds_read2st64_b64 v[52:55], v65 offset1:2
	v_mov_b32_e32 v125, v127
	v_mov_b32_e32 v16, 3
	v_mul_u32_u24_e32 v3, 0x1e0, v180
	v_lshlrev_b32_sdwa v4, v16, v181 dst_sel:DWORD dst_unused:UNUSED_PAD src0_sel:DWORD src1_sel:BYTE_0
	s_waitcnt lgkmcnt(0)
	v_pk_add_f32 v[120:121], v[52:53], v[154:155]
	v_add3_u32 v3, 0, v3, v4
	v_pk_add_f32 v[128:129], v[120:121], v[122:123]
	v_pk_add_f32 v[120:121], v[154:155], v[122:123]
	v_pk_add_f32 v[122:123], v[154:155], v[122:123] neg_lo:[0,1] neg_hi:[0,1]
	v_pk_fma_f32 v[52:53], v[120:121], 0.5, v[52:53] op_sel_hi:[1,0,1] neg_lo:[1,0,0] neg_hi:[1,0,0]
	v_pk_mul_f32 v[120:121], v[122:123], s[4:5] op_sel_hi:[1,0]
	v_pk_add_f32 v[122:123], v[150:151], v[124:125]
	v_pk_add_f32 v[130:131], v[120:121], v[52:53] op_sel:[1,0] op_sel_hi:[0,1]
	v_pk_add_f32 v[52:53], v[52:53], v[120:121] op_sel:[0,1] op_sel_hi:[1,0] neg_lo:[0,1] neg_hi:[0,1]
	v_pk_add_f32 v[120:121], v[124:125], v[158:159]
	v_mov_b32_e32 v177, v57
	v_pk_fma_f32 v[120:121], v[120:121], 0.5, v[150:151] op_sel_hi:[1,0,1] neg_lo:[1,0,0] neg_hi:[1,0,0]
	v_pk_add_f32 v[150:151], v[122:123], v[158:159]
	v_pk_add_f32 v[122:123], v[124:125], v[158:159] neg_lo:[0,1] neg_hi:[0,1]
	v_pk_add_f32 v[160:161], v[128:129], v[150:151]
	v_pk_fma_f32 v[152:153], v[122:123], s[4:5], v[120:121] op_sel:[0,0,1] op_sel_hi:[1,0,0]
	v_pk_fma_f32 v[154:155], v[122:123], s[4:5], v[120:121] op_sel:[0,0,1] op_sel_hi:[1,0,0] neg_lo:[1,0,0] neg_hi:[1,0,0]
	v_mul_f32_e32 v7, 0xbf5db3d7, v153
	v_mul_f32_e32 v4, 0x3f5db3d7, v154
	v_fmac_f32_e32 v7, 0.5, v154
	v_mov_b32_e32 v154, v152
	ds_read_b64 v[156:157], v113
	ds_read2st64_b64 v[120:123], v65 offset0:8 offset1:12
	ds_read2st64_b64 v[124:127], v65 offset0:18 offset1:22
	v_fmac_f32_e32 v4, 0.5, v153
	v_pk_mul_f32 v[152:153], v[154:155], 0.5 op_sel_hi:[1,0]
	v_pk_add_f32 v[128:129], v[128:129], v[150:151] neg_lo:[0,1] neg_hi:[0,1]
	v_pk_fma_f32 v[152:153], v[154:155], s[4:5], v[152:153] op_sel:[0,0,1] op_sel_hi:[1,1,0] neg_lo:[0,0,1] neg_hi:[0,0,1]
	v_mov_b32_e32 v150, v52
	v_mov_b32_e32 v151, v131
	v_pk_add_f32 v[154:155], v[150:151], v[152:153]
	s_waitcnt lgkmcnt(0)
	s_barrier
	v_add_f32_e32 v158, v130, v4
	v_add_f32_e32 v159, v53, v7
	ds_write2_b64 v3, v[154:155], v[128:129] offset0:20 offset1:30
	v_sub_f32_e32 v52, v130, v4
	v_sub_f32_e32 v53, v53, v7
	v_pk_add_f32 v[128:129], v[150:151], v[152:153] neg_lo:[0,1] neg_hi:[0,1]
	s_waitcnt vmcnt(0)
	v_mov_b32_e32 v4, v143
	ds_write2_b64 v3, v[52:53], v[128:129] offset0:40 offset1:50
	v_pk_mul_f32 v[52:53], v[50:51], v[4:5] op_sel_hi:[1,0]
	v_mov_b32_e32 v4, v135
	v_pk_fma_f32 v[128:129], v[50:51], v[142:143], v[52:53] op_sel:[0,0,1] op_sel_hi:[1,1,0] neg_lo:[0,0,1] neg_hi:[0,0,1]
	v_pk_fma_f32 v[50:51], v[50:51], v[142:143], v[52:53] op_sel:[0,0,1] op_sel_hi:[1,0,0]
	v_pk_mul_f32 v[52:53], v[124:125], v[140:141] op_sel:[0,1]
	v_mov_b32_e32 v173, v175
	v_pk_fma_f32 v[130:131], v[124:125], v[140:141], v[52:53] op_sel:[0,0,1] op_sel_hi:[1,1,0] neg_lo:[0,0,1] neg_hi:[0,0,1]
	v_pk_fma_f32 v[52:53], v[124:125], v[140:141], v[52:53] op_sel:[0,0,1] op_sel_hi:[1,0,0]
	v_pk_mul_f32 v[124:125], v[126:127], v[4:5] op_sel_hi:[1,0]
	v_mov_b32_e32 v147, v149
	v_pk_fma_f32 v[140:141], v[126:127], v[134:135], v[124:125] op_sel:[0,0,1] op_sel_hi:[1,1,0] neg_lo:[0,0,1] neg_hi:[0,0,1]
	v_pk_fma_f32 v[124:125], v[126:127], v[134:135], v[124:125] op_sel:[0,0,1] op_sel_hi:[1,0,0]
	v_pk_mul_f32 v[126:127], v[122:123], v[132:133] op_sel:[0,1]
	v_mov_b32_e32 v141, v125
	v_pk_fma_f32 v[134:135], v[122:123], v[132:133], v[126:127] op_sel:[0,0,1] op_sel_hi:[1,1,0] neg_lo:[0,0,1] neg_hi:[0,0,1]
	v_pk_fma_f32 v[122:123], v[122:123], v[132:133], v[126:127] op_sel:[0,0,1] op_sel_hi:[1,0,0]
	v_pk_add_f32 v[56:57], v[140:141], v[176:177]
	v_mov_b32_e32 v135, v123
	v_pk_add_f32 v[122:123], v[140:141], v[176:177] neg_lo:[0,1] neg_hi:[0,1]
	v_pk_fma_f32 v[56:57], v[56:57], 0.5, v[54:55] op_sel_hi:[1,0,1] neg_lo:[1,0,0] neg_hi:[1,0,0]
	v_pk_mul_f32 v[122:123], v[122:123], s[4:5] op_sel_hi:[1,0]
	v_pk_add_f32 v[132:133], v[172:173], v[146:147] neg_lo:[0,1] neg_hi:[0,1]
	v_pk_add_f32 v[124:125], v[122:123], v[56:57] op_sel:[1,0] op_sel_hi:[0,1]
	v_pk_add_f32 v[56:57], v[56:57], v[122:123] op_sel:[0,1] op_sel_hi:[1,0] neg_lo:[0,1] neg_hi:[0,1]
	v_pk_add_f32 v[122:123], v[172:173], v[146:147]
	ds_write2_b64 v3, v[160:161], v[158:159] offset1:10
	v_pk_fma_f32 v[122:123], v[122:123], 0.5, v[134:135] op_sel_hi:[1,0,1] neg_lo:[1,0,0] neg_hi:[1,0,0]
	v_pk_add_f32 v[126:127], v[134:135], v[172:173]
	v_pk_fma_f32 v[134:135], v[132:133], s[4:5], v[122:123] op_sel:[0,0,1] op_sel_hi:[1,0,0]
	v_pk_fma_f32 v[122:123], v[132:133], s[4:5], v[122:123] op_sel:[0,0,1] op_sel_hi:[1,0,0] neg_lo:[1,0,0] neg_hi:[1,0,0]
	v_mul_u32_u24_e32 v3, 0x1e0, v178
	v_lshlrev_b32_sdwa v4, v16, v179 dst_sel:DWORD dst_unused:UNUSED_PAD src0_sel:DWORD src1_sel:BYTE_0
	v_pk_add_f32 v[54:55], v[54:55], v[140:141]
	v_add3_u32 v3, 0, v3, v4
	v_mul_f32_e32 v4, 0x3f5db3d7, v122
	v_mul_f32_e32 v7, 0xbf5db3d7, v135
	v_pk_add_f32 v[54:55], v[54:55], v[176:177]
	v_pk_add_f32 v[126:127], v[126:127], v[146:147]
	v_fmac_f32_e32 v4, 0.5, v135
	v_fmac_f32_e32 v7, 0.5, v122
	v_add_f32_e32 v132, v124, v4
	v_add_f32_e32 v133, v57, v7
	v_pk_add_f32 v[140:141], v[54:55], v[126:127]
	v_mov_b32_e32 v122, v134
	ds_write2_b64 v3, v[140:141], v[132:133] offset1:10
	v_pk_mul_f32 v[132:133], v[122:123], 0.5 op_sel_hi:[1,0]
	v_pk_add_f32 v[54:55], v[54:55], v[126:127] neg_lo:[0,1] neg_hi:[0,1]
	v_pk_fma_f32 v[122:123], v[122:123], s[4:5], v[132:133] op_sel:[0,0,1] op_sel_hi:[1,1,0] neg_lo:[0,0,1] neg_hi:[0,0,1]
	v_mov_b32_e32 v126, v56
	v_mov_b32_e32 v127, v125
	;; [unrolled: 1-line block ×4, first 2 shown]
	v_pk_add_f32 v[132:133], v[126:127], v[122:123]
	v_mov_b32_e32 v27, v35
	v_pk_add_f32 v[34:35], v[30:31], v[164:165]
	v_pk_add_f32 v[36:37], v[156:157], v[30:31]
	v_pk_add_f32 v[30:31], v[30:31], v[164:165] neg_lo:[0,1] neg_hi:[0,1]
	ds_write2_b64 v3, v[132:133], v[54:55] offset0:20 offset1:30
	v_sub_f32_e32 v54, v124, v4
	v_sub_f32_e32 v55, v57, v7
	v_pk_add_f32 v[56:57], v[126:127], v[122:123] neg_lo:[0,1] neg_hi:[0,1]
	v_mov_b32_e32 v169, v171
	v_mov_b32_e32 v29, v145
	v_pk_fma_f32 v[34:35], v[34:35], 0.5, v[156:157] op_sel_hi:[1,0,1] neg_lo:[1,0,0] neg_hi:[1,0,0]
	v_pk_mul_f32 v[30:31], v[30:31], s[4:5] op_sel_hi:[1,0]
	ds_write2_b64 v3, v[54:55], v[56:57] offset0:40 offset1:50
	v_pk_add_f32 v[54:55], v[30:31], v[34:35] op_sel:[1,0] op_sel_hi:[0,1]
	v_pk_add_f32 v[30:31], v[34:35], v[30:31] op_sel:[0,1] op_sel_hi:[1,0] neg_lo:[0,1] neg_hi:[0,1]
	v_pk_add_f32 v[34:35], v[168:169], v[28:29]
	v_perm_b32 v3, v44, v48, s11
	v_pk_fma_f32 v[34:35], v[34:35], 0.5, v[26:27] op_sel_hi:[1,0,1] neg_lo:[1,0,0] neg_hi:[1,0,0]
	v_pk_add_f32 v[26:27], v[26:27], v[168:169]
	v_pk_mul_lo_u16 v3, v3, s10 op_sel_hi:[1,0]
	v_pk_add_f32 v[26:27], v[26:27], v[28:29]
	v_pk_add_f32 v[28:29], v[168:169], v[28:29] neg_lo:[0,1] neg_hi:[0,1]
	v_lshlrev_b32_e32 v4, 3, v47
	v_pk_fma_f32 v[56:57], v[28:29], s[4:5], v[34:35] op_sel:[0,0,1] op_sel_hi:[1,0,0]
	v_pk_fma_f32 v[28:29], v[28:29], s[4:5], v[34:35] op_sel:[0,0,1] op_sel_hi:[1,0,0] neg_lo:[1,0,0] neg_hi:[1,0,0]
	v_and_b32_e32 v7, 0xffe0, v3
	v_add3_u32 v4, 0, v7, v4
	v_mul_f32_e32 v7, 0x3f5db3d7, v28
	v_mul_f32_e32 v9, 0xbf5db3d7, v57
	v_pk_add_f32 v[36:37], v[36:37], v[164:165]
	v_fmac_f32_e32 v7, 0.5, v57
	v_fmac_f32_e32 v9, 0.5, v28
	v_add_f32_e32 v34, v54, v7
	v_add_f32_e32 v35, v31, v9
	v_pk_add_f32 v[48:49], v[36:37], v[26:27]
	v_mov_b32_e32 v28, v56
	ds_write2_b64 v4, v[48:49], v[34:35] offset1:10
	v_pk_mul_f32 v[34:35], v[28:29], 0.5 op_sel_hi:[1,0]
	v_pk_add_f32 v[26:27], v[36:37], v[26:27] neg_lo:[0,1] neg_hi:[0,1]
	v_pk_fma_f32 v[28:29], v[28:29], s[4:5], v[34:35] op_sel:[0,0,1] op_sel_hi:[1,1,0] neg_lo:[0,0,1] neg_hi:[0,0,1]
	v_mov_b32_e32 v34, v30
	v_mov_b32_e32 v35, v55
	v_pk_add_f32 v[36:37], v[34:35], v[28:29]
	ds_write2_b64 v4, v[36:37], v[26:27] offset0:20 offset1:30
	v_sub_f32_e32 v27, v31, v9
	v_mov_b32_e32 v9, v15
	v_mov_b32_e32 v139, v163
	v_sub_f32_e32 v26, v54, v7
	v_mov_b32_e32 v7, v13
	v_pk_add_f32 v[12:13], v[8:9], v[138:139]
	v_pk_add_f32 v[14:15], v[32:33], v[8:9]
	v_pk_add_f32 v[8:9], v[8:9], v[138:139] neg_lo:[0,1] neg_hi:[0,1]
	v_pk_add_f32 v[28:29], v[34:35], v[28:29] neg_lo:[0,1] neg_hi:[0,1]
	v_mov_b32_e32 v39, v137
	v_mov_b32_e32 v11, v17
	v_pk_fma_f32 v[12:13], v[12:13], 0.5, v[32:33] op_sel_hi:[1,0,1] neg_lo:[1,0,0] neg_hi:[1,0,0]
	v_pk_mul_f32 v[8:9], v[8:9], s[4:5] op_sel_hi:[1,0]
	ds_write2_b64 v4, v[26:27], v[28:29] offset0:40 offset1:50
	v_pk_add_f32 v[26:27], v[8:9], v[12:13] op_sel:[1,0] op_sel_hi:[0,1]
	v_pk_add_f32 v[8:9], v[12:13], v[8:9] op_sel:[0,1] op_sel_hi:[1,0] neg_lo:[0,1] neg_hi:[0,1]
	v_pk_add_f32 v[12:13], v[38:39], v[10:11]
	v_lshrrev_b32_e32 v3, 16, v3
	v_pk_fma_f32 v[12:13], v[12:13], 0.5, v[6:7] op_sel_hi:[1,0,1] neg_lo:[1,0,0] neg_hi:[1,0,0]
	v_pk_add_f32 v[6:7], v[6:7], v[38:39]
	v_lshlrev_b32_e32 v4, 3, v43
	v_pk_add_f32 v[6:7], v[6:7], v[10:11]
	v_pk_add_f32 v[10:11], v[38:39], v[10:11] neg_lo:[0,1] neg_hi:[0,1]
	v_add3_u32 v3, 0, v3, v4
	v_pk_fma_f32 v[28:29], v[10:11], s[4:5], v[12:13] op_sel:[0,0,1] op_sel_hi:[1,0,0]
	v_pk_fma_f32 v[10:11], v[10:11], s[4:5], v[12:13] op_sel:[0,0,1] op_sel_hi:[1,0,0] neg_lo:[1,0,0] neg_hi:[1,0,0]
	v_mul_f32_e32 v17, 0xbf5db3d7, v29
	v_mul_f32_e32 v4, 0x3f5db3d7, v10
	v_pk_add_f32 v[14:15], v[14:15], v[138:139]
	v_fmac_f32_e32 v4, 0.5, v29
	v_fmac_f32_e32 v17, 0.5, v10
	v_add_f32_e32 v12, v26, v4
	v_add_f32_e32 v13, v9, v17
	v_pk_add_f32 v[30:31], v[14:15], v[6:7]
	v_mov_b32_e32 v10, v28
	ds_write2_b64 v3, v[30:31], v[12:13] offset1:10
	v_pk_mul_f32 v[12:13], v[10:11], 0.5 op_sel_hi:[1,0]
	v_pk_add_f32 v[6:7], v[14:15], v[6:7] neg_lo:[0,1] neg_hi:[0,1]
	v_pk_fma_f32 v[10:11], v[10:11], s[4:5], v[12:13] op_sel:[0,0,1] op_sel_hi:[1,1,0] neg_lo:[0,0,1] neg_hi:[0,0,1]
	v_mov_b32_e32 v12, v8
	v_mov_b32_e32 v13, v27
	v_pk_add_f32 v[14:15], v[12:13], v[10:11]
	ds_write2_b64 v3, v[14:15], v[6:7] offset0:20 offset1:30
	v_sub_f32_e32 v6, v26, v4
	v_sub_f32_e32 v7, v9, v17
	v_pk_add_f32 v[8:9], v[12:13], v[10:11] neg_lo:[0,1] neg_hi:[0,1]
	v_mov_b32_e32 v129, v51
	v_mov_b32_e32 v21, v23
	ds_write2_b64 v3, v[6:7], v[8:9] offset0:40 offset1:50
	v_mov_b32_e32 v3, v5
	v_pk_add_f32 v[4:5], v[128:129], v[20:21]
	v_pk_add_f32 v[8:9], v[128:129], v[20:21] neg_lo:[0,1] neg_hi:[0,1]
	v_mov_b32_e32 v131, v53
	v_mov_b32_e32 v19, v25
	v_pk_fma_f32 v[4:5], v[4:5], 0.5, v[120:121] op_sel_hi:[1,0,1] neg_lo:[1,0,0] neg_hi:[1,0,0]
	v_pk_mul_f32 v[8:9], v[8:9], s[4:5] op_sel_hi:[1,0]
	v_pk_add_f32 v[12:13], v[130:131], v[18:19]
	v_pk_add_f32 v[10:11], v[8:9], v[4:5] op_sel:[1,0] op_sel_hi:[0,1]
	v_pk_add_f32 v[4:5], v[4:5], v[8:9] op_sel:[0,1] op_sel_hi:[1,0] neg_lo:[0,1] neg_hi:[0,1]
	v_pk_add_f32 v[8:9], v[18:19], v[2:3]
	v_pk_add_f32 v[12:13], v[12:13], v[2:3]
	v_pk_fma_f32 v[8:9], v[8:9], 0.5, v[130:131] op_sel_hi:[1,0,1] neg_lo:[1,0,0] neg_hi:[1,0,0]
	v_pk_add_f32 v[2:3], v[18:19], v[2:3] neg_lo:[0,1] neg_hi:[0,1]
	v_pk_add_f32 v[6:7], v[120:121], v[128:129]
	v_pk_fma_f32 v[14:15], v[2:3], s[4:5], v[8:9] op_sel:[0,0,1] op_sel_hi:[1,0,0]
	v_pk_fma_f32 v[2:3], v[2:3], s[4:5], v[8:9] op_sel:[0,0,1] op_sel_hi:[1,0,0] neg_lo:[1,0,0] neg_hi:[1,0,0]
	v_pk_add_f32 v[6:7], v[6:7], v[20:21]
	v_mul_f32_e32 v20, 0x3f5db3d7, v2
	v_fmac_f32_e32 v20, 0.5, v15
	v_mul_f32_e32 v15, 0xbf5db3d7, v15
	v_mul_u32_u24_e32 v8, 0x1e0, v45
	v_lshlrev_b32_e32 v9, 3, v46
	v_fmac_f32_e32 v15, 0.5, v2
	v_add3_u32 v17, 0, v8, v9
	v_add_f32_e32 v8, v10, v20
	v_add_f32_e32 v9, v5, v15
	v_pk_add_f32 v[18:19], v[6:7], v[12:13]
	v_mov_b32_e32 v2, v14
	ds_write2_b64 v17, v[18:19], v[8:9] offset1:10
	v_pk_mul_f32 v[8:9], v[2:3], 0.5 op_sel_hi:[1,0]
	v_pk_add_f32 v[6:7], v[6:7], v[12:13] neg_lo:[0,1] neg_hi:[0,1]
	v_pk_fma_f32 v[2:3], v[2:3], s[4:5], v[8:9] op_sel:[0,0,1] op_sel_hi:[1,1,0] neg_lo:[0,0,1] neg_hi:[0,0,1]
	v_mov_b32_e32 v8, v4
	v_mov_b32_e32 v9, v11
	v_pk_add_f32 v[12:13], v[8:9], v[2:3]
	v_pk_add_f32 v[2:3], v[8:9], v[2:3] neg_lo:[0,1] neg_hi:[0,1]
	v_mov_b32_e32 v8, 0x580
	v_bitop3_b32 v8, v62, s12, v8 bitop3:0xc8
	v_mul_u32_u24_e32 v8, 0x8889, v8
	v_lshrrev_b32_e32 v172, 21, v8
	v_mul_lo_u16_e32 v8, 60, v172
	v_sub_u16_e32 v8, v114, v8
	v_lshlrev_b32_e32 v173, 3, v8
	v_mov_b32_e32 v8, 0x500
	v_bitop3_b32 v8, v62, s12, v8 bitop3:0xc8
	ds_write2_b64 v17, v[12:13], v[6:7] offset0:20 offset1:30
	v_mul_u32_u24_e32 v13, 0x8889, v8
	v_lshrrev_b32_e32 v174, 21, v13
	v_mul_lo_u16_e32 v8, 60, v174
	v_sub_u16_e32 v8, v110, v8
	v_lshlrev_b32_e32 v175, 3, v8
	v_mov_b32_e32 v8, 0x480
	v_bitop3_b32 v8, v62, s12, v8 bitop3:0xc8
	v_mul_u32_u24_e32 v14, 0x8889, v8
	v_lshrrev_b32_e32 v176, 21, v14
	v_mul_lo_u16_e32 v8, 60, v176
	v_sub_u16_e32 v8, v106, v8
	v_lshlrev_b32_e32 v177, 3, v8
	v_mov_b32_e32 v8, 0x400
	v_bitop3_b32 v8, v62, s12, v8 bitop3:0xc8
	v_sub_f32_e32 v5, v5, v15
	v_mul_u32_u24_e32 v15, 0x8889, v8
	v_sub_f32_e32 v4, v10, v20
	v_lshrrev_b32_e32 v178, 21, v15
	ds_write2_b64 v17, v[4:5], v[2:3] offset0:40 offset1:50
	v_mov_b32_e32 v2, 0x700
	v_mul_lo_u16_e32 v8, 60, v178
	v_bitop3_b32 v2, v62, s12, v2 bitop3:0xc8
	v_sub_u16_e32 v8, v94, v8
	v_mul_u32_u24_e32 v10, 0x8889, v2
	v_lshlrev_b32_e32 v179, 3, v8
	v_mul_u32_u24_e32 v180, 0x445, v67
	v_mov_b32_e32 v8, 60
	v_lshrrev_b32_e32 v17, 21, v10
	v_mul_lo_u16_sdwa v8, v180, v8 dst_sel:DWORD dst_unused:UNUSED_PAD src0_sel:WORD_1 src1_sel:DWORD
	v_mul_lo_u16_e32 v2, 60, v17
	v_sub_u16_e32 v8, v67, v8
	v_sub_u16_e32 v2, v108, v2
	v_lshlrev_b32_e32 v181, 3, v8
	v_mov_b32_e32 v8, 0x300
	v_lshlrev_b32_e32 v18, 3, v2
	v_mov_b32_e32 v2, 0x680
	v_bitop3_b32 v8, v62, s12, v8 bitop3:0xc8
	v_bitop3_b32 v2, v62, s12, v2 bitop3:0xc8
	v_mul_u32_u24_e32 v8, 0x8889, v8
	v_mul_u32_u24_e32 v11, 0x8889, v2
	v_lshrrev_b32_e32 v182, 21, v8
	v_lshrrev_b32_e32 v168, 21, v11
	v_mul_lo_u16_e32 v9, 60, v182
	v_mul_lo_u16_e32 v2, 60, v168
	v_sub_u16_e32 v9, v102, v9
	v_sub_u16_e32 v2, v118, v2
	v_lshlrev_b32_e32 v183, 3, v9
	v_mov_b32_e32 v9, 0x280
	v_lshlrev_b32_e32 v169, 3, v2
	v_mov_b32_e32 v2, 0x600
	v_bitop3_b32 v9, v62, s12, v9 bitop3:0xc8
	v_bitop3_b32 v2, v62, s12, v2 bitop3:0xc8
	v_mul_u32_u24_e32 v20, 0x8889, v9
	v_mul_u32_u24_e32 v12, 0x8889, v2
	v_lshrrev_b32_e32 v184, 21, v20
	v_lshrrev_b32_e32 v170, 21, v12
	v_mul_lo_u16_e32 v9, 60, v184
	v_mul_lo_u16_e32 v2, 60, v170
	v_sub_u16_e32 v9, v104, v9
	v_sub_u16_e32 v2, v116, v2
	v_lshlrev_b32_e32 v185, 3, v9
	v_mul_u32_u24_e32 v9, 0x8889, v42
	s_waitcnt lgkmcnt(0)
	s_barrier
	v_lshlrev_b32_e32 v171, 3, v2
	global_load_dwordx2 v[6:7], v18, s[8:9] offset:400
	global_load_dwordx2 v[4:5], v169, s[8:9] offset:400
	;; [unrolled: 1-line block ×3, first 2 shown]
	v_lshrrev_b32_e32 v186, 21, v9
	v_mul_lo_u16_e32 v19, 60, v186
	v_sub_u16_e32 v19, v100, v19
	s_mov_b32 s5, 0x8889
	v_lshlrev_b32_e32 v187, 3, v19
	v_mul_u32_u24_sdwa v19, v70, s5 dst_sel:DWORD dst_unused:UNUSED_PAD src0_sel:WORD_0 src1_sel:DWORD
	v_lshrrev_b32_e32 v188, 21, v19
	v_mul_lo_u16_e32 v21, 60, v188
	v_sub_u16_e32 v21, v70, v21
	global_load_dwordx2 v[30:31], v173, s[8:9] offset:400
	global_load_dwordx2 v[32:33], v175, s[8:9] offset:400
	;; [unrolled: 1-line block ×4, first 2 shown]
	v_lshlrev_b32_e32 v189, 3, v21
	v_mul_u32_u24_sdwa v21, v112, s5 dst_sel:DWORD dst_unused:UNUSED_PAD src0_sel:WORD_0 src1_sel:DWORD
	v_lshrrev_b32_e32 v190, 21, v21
	v_mul_lo_u16_e32 v21, 60, v190
	v_sub_u16_e32 v21, v112, v21
	s_movk_i32 s4, 0x89
	v_lshlrev_b32_e32 v191, 3, v21
	v_mul_lo_u16_sdwa v21, v62, s4 dst_sel:DWORD dst_unused:UNUSED_PAD src0_sel:BYTE_0 src1_sel:DWORD
	global_load_dwordx2 v[38:39], v181, s[8:9] offset:400
	global_load_dwordx2 v[44:45], v183, s[8:9] offset:400
	;; [unrolled: 1-line block ×3, first 2 shown]
	v_lshrrev_b16_e32 v150, 13, v21
	v_mul_lo_u16_e32 v21, 60, v150
	v_sub_u16_e32 v21, v62, v21
	v_lshlrev_b32_sdwa v151, v16, v21 dst_sel:DWORD dst_unused:UNUSED_PAD src0_sel:DWORD src1_sel:BYTE_0
	v_mul_lo_u16_sdwa v21, v1, s4 dst_sel:DWORD dst_unused:UNUSED_PAD src0_sel:BYTE_0 src1_sel:DWORD
	global_load_dwordx2 v[42:43], v187, s[8:9] offset:400
	v_lshrrev_b16_e32 v192, 13, v21
	v_mul_lo_u16_e32 v22, 60, v192
	global_load_dwordx2 v[48:49], v151, s[8:9] offset:400
	global_load_dwordx2 v[50:51], v189, s[8:9] offset:400
	;; [unrolled: 1-line block ×3, first 2 shown]
	v_sub_u16_e32 v22, v1, v22
	v_lshlrev_b32_sdwa v193, v16, v22 dst_sel:DWORD dst_unused:UNUSED_PAD src0_sel:DWORD src1_sel:BYTE_0
	global_load_dwordx2 v[54:55], v193, s[8:9] offset:400
	ds_read2st64_b64 v[22:25], v65 offset0:56 offset1:58
	ds_read2st64_b64 v[26:29], v65 offset0:52 offset1:54
	s_movk_i32 s4, 0x3c0
	s_movk_i32 s12, 0x78
	v_cmp_gt_u32_e32 vcc, s12, v62
	s_movk_i32 s12, 0x77
	v_lshrrev_b32_e32 v19, 23, v19
	v_mul_lo_u16_sdwa v11, v11, s10 dst_sel:DWORD dst_unused:UNUSED_PAD src0_sel:BYTE_3 src1_sel:DWORD
	v_sub_u16_e32 v11, v118, v11
	s_waitcnt vmcnt(14) lgkmcnt(1)
	v_pk_mul_f32 v[56:57], v[24:25], v[6:7] op_sel:[0,1]
	s_nop 0
	v_pk_fma_f32 v[120:121], v[24:25], v[6:7], v[56:57] op_sel:[0,0,1] op_sel_hi:[1,1,0] neg_lo:[0,0,1] neg_hi:[0,0,1]
	v_pk_fma_f32 v[56:57], v[24:25], v[6:7], v[56:57] op_sel:[0,0,1] op_sel_hi:[1,0,0]
	s_waitcnt vmcnt(13)
	v_pk_mul_f32 v[6:7], v[22:23], v[4:5] op_sel:[0,1]
	v_mov_b32_e32 v121, v57
	v_pk_fma_f32 v[122:123], v[22:23], v[4:5], v[6:7] op_sel:[0,0,1] op_sel_hi:[1,1,0] neg_lo:[0,0,1] neg_hi:[0,0,1]
	v_pk_fma_f32 v[124:125], v[22:23], v[4:5], v[6:7] op_sel:[0,0,1] op_sel_hi:[1,0,0]
	ds_read2st64_b64 v[4:7], v65 offset0:48 offset1:50
	s_waitcnt vmcnt(12) lgkmcnt(1)
	v_pk_mul_f32 v[22:23], v[28:29], v[2:3] op_sel:[0,1]
	v_mov_b32_e32 v123, v125
	v_pk_fma_f32 v[126:127], v[28:29], v[2:3], v[22:23] op_sel:[0,0,1] op_sel_hi:[1,1,0] neg_lo:[0,0,1] neg_hi:[0,0,1]
	v_pk_fma_f32 v[28:29], v[28:29], v[2:3], v[22:23] op_sel:[0,0,1] op_sel_hi:[1,0,0]
	s_waitcnt vmcnt(11)
	v_pk_mul_f32 v[2:3], v[26:27], v[30:31] op_sel:[0,1]
	ds_read2st64_b64 v[22:25], v65 offset0:44 offset1:46
	v_pk_fma_f32 v[128:129], v[26:27], v[30:31], v[2:3] op_sel:[0,0,1] op_sel_hi:[1,1,0] neg_lo:[0,0,1] neg_hi:[0,0,1]
	v_pk_fma_f32 v[26:27], v[26:27], v[30:31], v[2:3] op_sel:[0,0,1] op_sel_hi:[1,0,0]
	s_waitcnt vmcnt(10) lgkmcnt(1)
	v_pk_mul_f32 v[2:3], v[6:7], v[32:33] op_sel:[0,1]
	v_mov_b32_e32 v129, v27
	v_pk_fma_f32 v[30:31], v[6:7], v[32:33], v[2:3] op_sel:[0,0,1] op_sel_hi:[1,1,0] neg_lo:[0,0,1] neg_hi:[0,0,1]
	v_pk_fma_f32 v[6:7], v[6:7], v[32:33], v[2:3] op_sel:[0,0,1] op_sel_hi:[1,0,0]
	s_waitcnt vmcnt(9)
	v_pk_mul_f32 v[2:3], v[4:5], v[34:35] op_sel:[0,1]
	s_waitcnt vmcnt(8) lgkmcnt(0)
	v_pk_mul_f32 v[130:131], v[24:25], v[36:37] op_sel:[0,1]
	v_pk_fma_f32 v[32:33], v[4:5], v[34:35], v[2:3] op_sel:[0,0,1] op_sel_hi:[1,1,0] neg_lo:[0,0,1] neg_hi:[0,0,1]
	v_pk_fma_f32 v[34:35], v[4:5], v[34:35], v[2:3] op_sel:[0,0,1] op_sel_hi:[1,0,0]
	ds_read2st64_b64 v[2:5], v65 offset0:40 offset1:42
	v_pk_fma_f32 v[132:133], v[24:25], v[36:37], v[130:131] op_sel:[0,0,1] op_sel_hi:[1,1,0] neg_lo:[0,0,1] neg_hi:[0,0,1]
	v_pk_fma_f32 v[36:37], v[24:25], v[36:37], v[130:131] op_sel:[0,0,1] op_sel_hi:[1,0,0]
	s_waitcnt vmcnt(7)
	v_pk_mul_f32 v[24:25], v[22:23], v[38:39] op_sel:[0,1]
	v_mul_u32_u24_e32 v6, 0x3c0, v150
	v_pk_fma_f32 v[130:131], v[22:23], v[38:39], v[24:25] op_sel:[0,0,1] op_sel_hi:[1,1,0] neg_lo:[0,0,1] neg_hi:[0,0,1]
	v_pk_fma_f32 v[38:39], v[22:23], v[38:39], v[24:25] op_sel:[0,0,1] op_sel_hi:[1,0,0]
	ds_read2st64_b64 v[22:25], v65 offset0:36 offset1:38
	s_waitcnt vmcnt(6) lgkmcnt(1)
	v_pk_mul_f32 v[134:135], v[4:5], v[44:45] op_sel:[0,1]
	v_add3_u32 v6, 0, v6, v151
	v_pk_fma_f32 v[136:137], v[4:5], v[44:45], v[134:135] op_sel:[0,0,1] op_sel_hi:[1,1,0] neg_lo:[0,0,1] neg_hi:[0,0,1]
	v_pk_fma_f32 v[44:45], v[4:5], v[44:45], v[134:135] op_sel:[0,0,1] op_sel_hi:[1,0,0]
	s_waitcnt vmcnt(5)
	v_pk_mul_f32 v[4:5], v[2:3], v[46:47] op_sel:[0,1]
	s_waitcnt vmcnt(4) lgkmcnt(0)
	v_pk_mul_f32 v[138:139], v[24:25], v[42:43] op_sel:[0,1]
	v_pk_fma_f32 v[134:135], v[2:3], v[46:47], v[4:5] op_sel:[0,0,1] op_sel_hi:[1,1,0] neg_lo:[0,0,1] neg_hi:[0,0,1]
	v_pk_fma_f32 v[46:47], v[2:3], v[46:47], v[4:5] op_sel:[0,0,1] op_sel_hi:[1,0,0]
	ds_read2st64_b64 v[2:5], v65 offset0:32 offset1:34
	v_pk_fma_f32 v[140:141], v[24:25], v[42:43], v[138:139] op_sel:[0,0,1] op_sel_hi:[1,1,0] neg_lo:[0,0,1] neg_hi:[0,0,1]
	v_pk_fma_f32 v[42:43], v[24:25], v[42:43], v[138:139] op_sel:[0,0,1] op_sel_hi:[1,0,0]
	s_waitcnt vmcnt(2)
	v_pk_mul_f32 v[24:25], v[22:23], v[50:51] op_sel:[0,1]
	v_mov_b32_e32 v141, v43
	v_pk_fma_f32 v[138:139], v[22:23], v[50:51], v[24:25] op_sel:[0,0,1] op_sel_hi:[1,1,0] neg_lo:[0,0,1] neg_hi:[0,0,1]
	v_pk_fma_f32 v[50:51], v[22:23], v[50:51], v[24:25] op_sel:[0,0,1] op_sel_hi:[1,0,0]
	ds_read2st64_b64 v[22:25], v65 offset0:8 offset1:30
	s_waitcnt vmcnt(1) lgkmcnt(1)
	v_pk_mul_f32 v[142:143], v[4:5], v[52:53] op_sel:[0,1]
	v_mov_b32_e32 v139, v51
	v_pk_fma_f32 v[144:145], v[4:5], v[52:53], v[142:143] op_sel:[0,0,1] op_sel_hi:[1,1,0] neg_lo:[0,0,1] neg_hi:[0,0,1]
	v_pk_fma_f32 v[52:53], v[4:5], v[52:53], v[142:143] op_sel:[0,0,1] op_sel_hi:[1,0,0]
	s_waitcnt vmcnt(0)
	v_pk_mul_f32 v[4:5], v[54:55], v[2:3] op_sel:[0,1]
	s_waitcnt lgkmcnt(0)
	v_pk_mul_f32 v[146:147], v[48:49], v[24:25] op_sel:[0,1]
	v_pk_fma_f32 v[142:143], v[54:55], v[2:3], v[4:5] op_sel:[0,0,1] op_sel_hi:[1,1,0] neg_lo:[0,0,1] neg_hi:[0,0,1]
	v_pk_fma_f32 v[54:55], v[54:55], v[2:3], v[4:5] op_sel:[0,0,1] op_sel_hi:[1,0,0]
	ds_read2st64_b64 v[2:5], v65 offset1:2
	v_pk_fma_f32 v[148:149], v[48:49], v[24:25], v[146:147] op_sel:[0,0,1] op_sel_hi:[1,1,0] neg_lo:[0,0,1] neg_hi:[0,0,1]
	v_pk_fma_f32 v[24:25], v[48:49], v[24:25], v[146:147] op_sel:[0,0,1] op_sel_hi:[1,0,0]
	v_mov_b32_e32 v143, v55
	v_mov_b32_e32 v149, v25
	s_waitcnt lgkmcnt(0)
	v_pk_add_f32 v[24:25], v[2:3], v[148:149] neg_lo:[0,1] neg_hi:[0,1]
	ds_read_b64 v[48:49], v119
	ds_read_b64 v[146:147], v117
	;; [unrolled: 1-line block ×12, first 2 shown]
	v_pk_fma_f32 v[2:3], v[2:3], 2.0, v[24:25] op_sel_hi:[1,0,1] neg_lo:[0,0,1] neg_hi:[0,0,1]
	s_waitcnt lgkmcnt(0)
	s_barrier
	ds_write2_b64 v6, v[2:3], v[24:25] offset1:60
	v_pk_add_f32 v[2:3], v[4:5], v[142:143] neg_lo:[0,1] neg_hi:[0,1]
	v_mul_u32_u24_e32 v6, 0x3c0, v192
	v_pk_fma_f32 v[4:5], v[4:5], 2.0, v[2:3] op_sel_hi:[1,0,1] neg_lo:[0,0,1] neg_hi:[0,0,1]
	v_add3_u32 v6, 0, v6, v193
	ds_write2_b64 v6, v[4:5], v[2:3] offset1:60
	v_mov_b32_e32 v145, v53
	v_mul_u32_u24_e32 v2, 0x3c0, v190
	v_add3_u32 v6, 0, v2, v191
	v_pk_add_f32 v[2:3], v[166:167], v[144:145] neg_lo:[0,1] neg_hi:[0,1]
	v_mov_b32_e32 v135, v47
	v_pk_fma_f32 v[4:5], v[166:167], 2.0, v[2:3] op_sel_hi:[1,0,1] neg_lo:[0,0,1] neg_hi:[0,0,1]
	ds_write2_b64 v6, v[4:5], v[2:3] offset1:60
	v_mul_u32_u24_e32 v2, 0x3c0, v188
	v_add3_u32 v6, 0, v2, v189
	v_pk_add_f32 v[2:3], v[164:165], v[138:139] neg_lo:[0,1] neg_hi:[0,1]
	v_mov_b32_e32 v137, v45
	v_pk_fma_f32 v[4:5], v[164:165], 2.0, v[2:3] op_sel_hi:[1,0,1] neg_lo:[0,0,1] neg_hi:[0,0,1]
	ds_write2_b64 v6, v[4:5], v[2:3] offset1:60
	v_pk_add_f32 v[2:3], v[22:23], v[140:141] neg_lo:[0,1] neg_hi:[0,1]
	v_mul_u32_u24_e32 v6, 0x3c0, v186
	v_pk_fma_f32 v[4:5], v[22:23], 2.0, v[2:3] op_sel_hi:[1,0,1] neg_lo:[0,0,1] neg_hi:[0,0,1]
	v_add3_u32 v6, 0, v6, v187
	ds_write2_b64 v6, v[4:5], v[2:3] offset1:60
	v_perm_b32 v2, v182, v184, s11
	v_pk_mul_lo_u16 v6, v2, s4 op_sel_hi:[1,0]
	v_mov_b32_e32 v131, v39
	v_and_b32_e32 v2, 0xffc0, v6
	v_add3_u32 v22, 0, v2, v185
	v_pk_add_f32 v[2:3], v[162:163], v[134:135] neg_lo:[0,1] neg_hi:[0,1]
	v_mov_b32_e32 v133, v37
	v_pk_fma_f32 v[4:5], v[162:163], 2.0, v[2:3] op_sel_hi:[1,0,1] neg_lo:[0,0,1] neg_hi:[0,0,1]
	ds_write2_b64 v22, v[4:5], v[2:3] offset1:60
	v_lshrrev_b32_e32 v2, 16, v6
	v_add3_u32 v6, 0, v2, v183
	v_pk_add_f32 v[2:3], v[160:161], v[136:137] neg_lo:[0,1] neg_hi:[0,1]
	v_mov_b32_e32 v33, v35
	v_pk_fma_f32 v[4:5], v[160:161], 2.0, v[2:3] op_sel_hi:[1,0,1] neg_lo:[0,0,1] neg_hi:[0,0,1]
	ds_write2_b64 v6, v[4:5], v[2:3] offset1:60
	v_alignbit_b32 v2, v178, v180, 16
	v_pk_mul_lo_u16 v6, v2, s4 op_sel_hi:[1,0]
	v_mov_b32_e32 v31, v7
	v_and_b32_e32 v2, 0xffc0, v6
	v_add3_u32 v22, 0, v2, v181
	v_pk_add_f32 v[2:3], v[158:159], v[130:131] neg_lo:[0,1] neg_hi:[0,1]
	v_mov_b32_e32 v127, v29
	v_pk_fma_f32 v[4:5], v[158:159], 2.0, v[2:3] op_sel_hi:[1,0,1] neg_lo:[0,0,1] neg_hi:[0,0,1]
	ds_write2_b64 v22, v[4:5], v[2:3] offset1:60
	v_lshrrev_b32_e32 v2, 16, v6
	v_add3_u32 v6, 0, v2, v179
	v_pk_add_f32 v[2:3], v[156:157], v[132:133] neg_lo:[0,1] neg_hi:[0,1]
	v_mul_u32_u24_sdwa v166, v118, s5 dst_sel:DWORD dst_unused:UNUSED_PAD src0_sel:WORD_0 src1_sel:DWORD
	v_pk_fma_f32 v[4:5], v[156:157], 2.0, v[2:3] op_sel_hi:[1,0,1] neg_lo:[0,0,1] neg_hi:[0,0,1]
	ds_write2_b64 v6, v[4:5], v[2:3] offset1:60
	v_perm_b32 v2, v174, v176, s11
	v_pk_mul_lo_u16 v6, v2, s4 op_sel_hi:[1,0]
	v_lshrrev_b32_e32 v167, 22, v166
	v_and_b32_e32 v2, 0xffc0, v6
	v_add3_u32 v22, 0, v2, v177
	v_pk_add_f32 v[2:3], v[154:155], v[32:33] neg_lo:[0,1] neg_hi:[0,1]
	v_lshrrev_b32_e32 v178, 22, v15
	v_pk_fma_f32 v[4:5], v[154:155], 2.0, v[2:3] op_sel_hi:[1,0,1] neg_lo:[0,0,1] neg_hi:[0,0,1]
	ds_write2_b64 v22, v[4:5], v[2:3] offset1:60
	v_lshrrev_b32_e32 v2, 16, v6
	v_add3_u32 v6, 0, v2, v175
	v_pk_add_f32 v[2:3], v[152:153], v[30:31] neg_lo:[0,1] neg_hi:[0,1]
	v_mul_u32_u24_sdwa v175, v106, s5 dst_sel:DWORD dst_unused:UNUSED_PAD src0_sel:WORD_0 src1_sel:DWORD
	v_pk_fma_f32 v[4:5], v[152:153], 2.0, v[2:3] op_sel_hi:[1,0,1] neg_lo:[0,0,1] neg_hi:[0,0,1]
	ds_write2_b64 v6, v[4:5], v[2:3] offset1:60
	v_perm_b32 v2, v170, v172, s11
	v_pk_mul_lo_u16 v6, v2, s4 op_sel_hi:[1,0]
	v_lshrrev_b32_e32 v176, 22, v175
	v_and_b32_e32 v2, 0xffc0, v6
	v_add3_u32 v7, 0, v2, v173
	v_pk_add_f32 v[2:3], v[150:151], v[128:129] neg_lo:[0,1] neg_hi:[0,1]
	v_lshrrev_b32_e32 v184, 22, v20
	v_pk_fma_f32 v[4:5], v[150:151], 2.0, v[2:3] op_sel_hi:[1,0,1] neg_lo:[0,0,1] neg_hi:[0,0,1]
	ds_write2_b64 v7, v[4:5], v[2:3] offset1:60
	v_lshrrev_b32_e32 v2, 16, v6
	v_add3_u32 v6, 0, v2, v171
	v_pk_add_f32 v[2:3], v[148:149], v[126:127] neg_lo:[0,1] neg_hi:[0,1]
	v_lshrrev_b32_e32 v186, 22, v9
	v_pk_fma_f32 v[4:5], v[148:149], 2.0, v[2:3] op_sel_hi:[1,0,1] neg_lo:[0,0,1] neg_hi:[0,0,1]
	ds_write2_b64 v6, v[4:5], v[2:3] offset1:60
	v_perm_b32 v2, v17, v168, s11
	v_pk_mul_lo_u16 v6, v2, s4 op_sel_hi:[1,0]
	v_mul_u32_u24_sdwa v17, v114, s5 dst_sel:DWORD dst_unused:UNUSED_PAD src0_sel:WORD_0 src1_sel:DWORD
	v_and_b32_e32 v2, 0xffc0, v6
	v_add3_u32 v7, 0, v2, v169
	v_pk_add_f32 v[2:3], v[146:147], v[122:123] neg_lo:[0,1] neg_hi:[0,1]
	v_lshrrev_b32_e32 v171, 22, v17
	v_pk_fma_f32 v[4:5], v[146:147], 2.0, v[2:3] op_sel_hi:[1,0,1] neg_lo:[0,0,1] neg_hi:[0,0,1]
	ds_write2_b64 v7, v[4:5], v[2:3] offset1:60
	v_lshrrev_b32_e32 v2, 16, v6
	v_add3_u32 v6, 0, v2, v18
	v_pk_add_f32 v[2:3], v[48:49], v[120:121] neg_lo:[0,1] neg_hi:[0,1]
	v_mul_u32_u24_sdwa v18, v67, s5 dst_sel:DWORD dst_unused:UNUSED_PAD src0_sel:WORD_0 src1_sel:DWORD
	v_pk_fma_f32 v[4:5], v[48:49], 2.0, v[2:3] op_sel_hi:[1,0,1] neg_lo:[0,0,1] neg_hi:[0,0,1]
	ds_write2_b64 v6, v[4:5], v[2:3] offset1:60
	v_mul_lo_u16_e32 v4, 0x78, v167
	v_sub_u16_e32 v4, v118, v4
	v_lshlrev_b32_e32 v168, 3, v4
	v_mul_u32_u24_sdwa v4, v116, s5 dst_sel:DWORD dst_unused:UNUSED_PAD src0_sel:WORD_0 src1_sel:DWORD
	v_lshrrev_b32_e32 v169, 22, v4
	v_mul_lo_u16_e32 v4, 0x78, v169
	v_sub_u16_e32 v4, v116, v4
	v_lshlrev_b32_e32 v170, 3, v4
	v_mul_lo_u16_e32 v4, 0x78, v171
	v_sub_u16_e32 v4, v114, v4
	v_lshlrev_b32_e32 v172, 3, v4
	v_mul_u32_u24_sdwa v4, v110, s5 dst_sel:DWORD dst_unused:UNUSED_PAD src0_sel:WORD_0 src1_sel:DWORD
	v_lshrrev_b32_e32 v173, 22, v4
	v_mul_lo_u16_e32 v4, 0x78, v173
	v_mul_u32_u24_sdwa v2, v108, s5 dst_sel:DWORD dst_unused:UNUSED_PAD src0_sel:WORD_0 src1_sel:DWORD
	v_sub_u16_e32 v4, v110, v4
	v_lshrrev_b32_e32 v164, 22, v2
	v_lshlrev_b32_e32 v174, 3, v4
	v_mul_lo_u16_e32 v4, 0x78, v176
	v_mul_lo_u16_e32 v2, 0x78, v164
	v_sub_u16_e32 v4, v106, v4
	v_sub_u16_e32 v2, v108, v2
	v_lshlrev_b32_e32 v177, 3, v4
	v_mul_lo_u16_e32 v4, 0x78, v178
	v_lshlrev_b32_e32 v165, 3, v2
	v_sub_u16_e32 v4, v94, v4
	v_lshrrev_b32_e32 v180, 22, v18
	s_waitcnt lgkmcnt(0)
	s_barrier
	global_load_dwordx2 v[2:3], v165, s[8:9] offset:880
	v_lshlrev_b32_e32 v179, 3, v4
	v_mul_lo_u16_e32 v4, 0x78, v180
	v_sub_u16_e32 v4, v67, v4
	v_lshlrev_b32_e32 v181, 3, v4
	v_mul_u32_u24_sdwa v4, v102, s5 dst_sel:DWORD dst_unused:UNUSED_PAD src0_sel:WORD_0 src1_sel:DWORD
	v_lshrrev_b32_e32 v182, 22, v4
	global_load_dwordx2 v[24:25], v168, s[8:9] offset:880
	global_load_dwordx2 v[26:27], v170, s[8:9] offset:880
	;; [unrolled: 1-line block ×4, first 2 shown]
	v_mul_lo_u16_e32 v4, 0x78, v182
	v_sub_u16_e32 v4, v102, v4
	v_lshlrev_b32_e32 v183, 3, v4
	v_mul_lo_u16_e32 v4, 0x78, v184
	v_sub_u16_e32 v4, v104, v4
	v_lshlrev_b32_e32 v185, 3, v4
	;; [unrolled: 3-line block ×3, first 2 shown]
	v_mul_u32_u24_e32 v4, 0x8889, v40
	global_load_dwordx2 v[32:33], v177, s[8:9] offset:880
	global_load_dwordx2 v[34:35], v179, s[8:9] offset:880
	global_load_dwordx2 v[36:37], v181, s[8:9] offset:880
	global_load_dwordx2 v[38:39], v183, s[8:9] offset:880
	v_lshrrev_b32_e32 v188, 22, v4
	v_mul_lo_u16_e32 v4, 0x78, v188
	v_sub_u16_e32 v4, v70, v4
	v_lshlrev_b32_e32 v189, 3, v4
	v_mul_u32_u24_e32 v4, 0x8889, v41
	v_lshrrev_b32_e32 v190, 22, v4
	v_mul_lo_u16_e32 v4, 0x78, v190
	global_load_dwordx2 v[42:43], v185, s[8:9] offset:880
	global_load_dwordx2 v[44:45], v187, s[8:9] offset:880
	;; [unrolled: 1-line block ×3, first 2 shown]
	v_sub_u16_e32 v4, v112, v4
	v_lshrrev_b16_e32 v191, 14, v21
	v_lshlrev_b32_e32 v112, 3, v4
	v_mul_lo_u16_e32 v4, 0x78, v191
	v_sub_u16_e32 v4, v1, v4
	v_lshlrev_b32_sdwa v16, v16, v4 dst_sel:DWORD dst_unused:UNUSED_PAD src0_sel:DWORD src1_sel:BYTE_0
	v_add_u32_e32 v4, 0xffffff88, v62
	v_cndmask_b32_e32 v50, v4, v62, vcc
	v_mov_b32_e32 v51, v63
	global_load_dwordx2 v[40:41], v112, s[8:9] offset:880
	global_load_dwordx2 v[48:49], v16, s[8:9] offset:880
	v_lshl_add_u64 v[4:5], v[50:51], 3, s[8:9]
	global_load_dwordx2 v[52:53], v[4:5], off offset:880
	ds_read2st64_b64 v[4:7], v65 offset0:56 offset1:58
	ds_read2st64_b64 v[20:23], v65 offset0:52 offset1:54
	v_cmp_lt_u32_e32 vcc, s12, v62
	s_movk_i32 s12, 0x780
	s_waitcnt vmcnt(14) lgkmcnt(1)
	v_pk_mul_f32 v[54:55], v[6:7], v[2:3] op_sel:[0,1]
	s_nop 0
	v_pk_fma_f32 v[56:57], v[6:7], v[2:3], v[54:55] op_sel:[0,0,1] op_sel_hi:[1,1,0] neg_lo:[0,0,1] neg_hi:[0,0,1]
	v_pk_fma_f32 v[6:7], v[6:7], v[2:3], v[54:55] op_sel:[0,0,1] op_sel_hi:[1,0,0]
	s_waitcnt vmcnt(13)
	v_pk_mul_f32 v[2:3], v[4:5], v[24:25] op_sel:[0,1]
	s_nop 0
	v_pk_fma_f32 v[54:55], v[4:5], v[24:25], v[2:3] op_sel:[0,0,1] op_sel_hi:[1,1,0] neg_lo:[0,0,1] neg_hi:[0,0,1]
	v_pk_fma_f32 v[24:25], v[4:5], v[24:25], v[2:3] op_sel:[0,0,1] op_sel_hi:[1,0,0]
	s_waitcnt vmcnt(12) lgkmcnt(0)
	v_pk_mul_f32 v[120:121], v[22:23], v[26:27] op_sel:[0,1]
	ds_read2st64_b64 v[2:5], v65 offset0:48 offset1:50
	v_pk_fma_f32 v[122:123], v[22:23], v[26:27], v[120:121] op_sel:[0,0,1] op_sel_hi:[1,1,0] neg_lo:[0,0,1] neg_hi:[0,0,1]
	v_pk_fma_f32 v[26:27], v[22:23], v[26:27], v[120:121] op_sel:[0,0,1] op_sel_hi:[1,0,0]
	s_waitcnt vmcnt(11)
	v_pk_mul_f32 v[22:23], v[20:21], v[28:29] op_sel:[0,1]
	v_lshlrev_b32_e32 v6, 3, v50
	v_pk_fma_f32 v[120:121], v[20:21], v[28:29], v[22:23] op_sel:[0,0,1] op_sel_hi:[1,1,0] neg_lo:[0,0,1] neg_hi:[0,0,1]
	v_pk_fma_f32 v[28:29], v[20:21], v[28:29], v[22:23] op_sel:[0,0,1] op_sel_hi:[1,0,0]
	ds_read2st64_b64 v[20:23], v65 offset0:44 offset1:46
	s_waitcnt vmcnt(10) lgkmcnt(1)
	v_pk_mul_f32 v[124:125], v[4:5], v[30:31] op_sel:[0,1]
	v_mov_b32_e32 v121, v29
	v_pk_fma_f32 v[126:127], v[4:5], v[30:31], v[124:125] op_sel:[0,0,1] op_sel_hi:[1,1,0] neg_lo:[0,0,1] neg_hi:[0,0,1]
	v_pk_fma_f32 v[30:31], v[4:5], v[30:31], v[124:125] op_sel:[0,0,1] op_sel_hi:[1,0,0]
	s_waitcnt vmcnt(9)
	v_pk_mul_f32 v[4:5], v[2:3], v[32:33] op_sel:[0,1]
	s_waitcnt vmcnt(8) lgkmcnt(0)
	v_pk_mul_f32 v[128:129], v[22:23], v[34:35] op_sel:[0,1]
	v_pk_fma_f32 v[124:125], v[2:3], v[32:33], v[4:5] op_sel:[0,0,1] op_sel_hi:[1,1,0] neg_lo:[0,0,1] neg_hi:[0,0,1]
	v_pk_fma_f32 v[32:33], v[2:3], v[32:33], v[4:5] op_sel:[0,0,1] op_sel_hi:[1,0,0]
	ds_read2st64_b64 v[2:5], v65 offset0:40 offset1:42
	v_pk_fma_f32 v[130:131], v[22:23], v[34:35], v[128:129] op_sel:[0,0,1] op_sel_hi:[1,1,0] neg_lo:[0,0,1] neg_hi:[0,0,1]
	v_pk_fma_f32 v[34:35], v[22:23], v[34:35], v[128:129] op_sel:[0,0,1] op_sel_hi:[1,0,0]
	s_waitcnt vmcnt(7)
	v_pk_mul_f32 v[22:23], v[20:21], v[36:37] op_sel:[0,1]
	v_mov_b32_e32 v131, v35
	v_pk_fma_f32 v[128:129], v[20:21], v[36:37], v[22:23] op_sel:[0,0,1] op_sel_hi:[1,1,0] neg_lo:[0,0,1] neg_hi:[0,0,1]
	v_pk_fma_f32 v[36:37], v[20:21], v[36:37], v[22:23] op_sel:[0,0,1] op_sel_hi:[1,0,0]
	ds_read2st64_b64 v[20:23], v65 offset0:36 offset1:38
	s_waitcnt vmcnt(6) lgkmcnt(1)
	v_pk_mul_f32 v[132:133], v[4:5], v[38:39] op_sel:[0,1]
	v_mov_b32_e32 v129, v37
	v_pk_fma_f32 v[134:135], v[4:5], v[38:39], v[132:133] op_sel:[0,0,1] op_sel_hi:[1,1,0] neg_lo:[0,0,1] neg_hi:[0,0,1]
	v_pk_fma_f32 v[38:39], v[4:5], v[38:39], v[132:133] op_sel:[0,0,1] op_sel_hi:[1,0,0]
	s_waitcnt vmcnt(5)
	v_pk_mul_f32 v[4:5], v[2:3], v[42:43] op_sel:[0,1]
	s_waitcnt vmcnt(4) lgkmcnt(0)
	v_pk_mul_f32 v[136:137], v[22:23], v[44:45] op_sel:[0,1]
	v_pk_fma_f32 v[132:133], v[2:3], v[42:43], v[4:5] op_sel:[0,0,1] op_sel_hi:[1,1,0] neg_lo:[0,0,1] neg_hi:[0,0,1]
	v_pk_fma_f32 v[42:43], v[2:3], v[42:43], v[4:5] op_sel:[0,0,1] op_sel_hi:[1,0,0]
	ds_read2st64_b64 v[2:5], v65 offset0:32 offset1:34
	v_pk_fma_f32 v[138:139], v[22:23], v[44:45], v[136:137] op_sel:[0,0,1] op_sel_hi:[1,1,0] neg_lo:[0,0,1] neg_hi:[0,0,1]
	v_pk_fma_f32 v[44:45], v[22:23], v[44:45], v[136:137] op_sel:[0,0,1] op_sel_hi:[1,0,0]
	s_waitcnt vmcnt(3)
	v_pk_mul_f32 v[22:23], v[20:21], v[46:47] op_sel:[0,1]
	v_mov_b32_e32 v139, v45
	v_pk_fma_f32 v[136:137], v[20:21], v[46:47], v[22:23] op_sel:[0,0,1] op_sel_hi:[1,1,0] neg_lo:[0,0,1] neg_hi:[0,0,1]
	v_pk_fma_f32 v[46:47], v[20:21], v[46:47], v[22:23] op_sel:[0,0,1] op_sel_hi:[1,0,0]
	ds_read2st64_b64 v[20:23], v65 offset0:8 offset1:30
	s_waitcnt vmcnt(2) lgkmcnt(1)
	v_pk_mul_f32 v[140:141], v[40:41], v[4:5] op_sel:[0,1]
	v_mov_b32_e32 v137, v47
	v_pk_fma_f32 v[142:143], v[40:41], v[4:5], v[140:141] op_sel:[0,0,1] op_sel_hi:[1,1,0] neg_lo:[0,0,1] neg_hi:[0,0,1]
	v_pk_fma_f32 v[40:41], v[40:41], v[4:5], v[140:141] op_sel:[0,0,1] op_sel_hi:[1,0,0]
	s_waitcnt vmcnt(1)
	v_pk_mul_f32 v[4:5], v[48:49], v[2:3] op_sel:[0,1]
	v_mov_b32_e32 v143, v41
	v_pk_fma_f32 v[140:141], v[48:49], v[2:3], v[4:5] op_sel:[0,0,1] op_sel_hi:[1,1,0] neg_lo:[0,0,1] neg_hi:[0,0,1]
	v_pk_fma_f32 v[48:49], v[48:49], v[2:3], v[4:5] op_sel:[0,0,1] op_sel_hi:[1,0,0]
	s_waitcnt vmcnt(0) lgkmcnt(0)
	v_pk_mul_f32 v[2:3], v[52:53], v[22:23] op_sel:[0,1]
	v_mov_b32_e32 v141, v49
	v_pk_fma_f32 v[144:145], v[52:53], v[22:23], v[2:3] op_sel:[0,0,1] op_sel_hi:[1,1,0] neg_lo:[0,0,1] neg_hi:[0,0,1]
	v_pk_fma_f32 v[2:3], v[52:53], v[22:23], v[2:3] op_sel:[0,0,1] op_sel_hi:[1,0,0]
	v_mov_b32_e32 v22, 0x780
	v_mov_b32_e32 v145, v3
	ds_read2st64_b64 v[2:5], v65 offset1:2
	v_cndmask_b32_e32 v22, 0, v22, vcc
	v_add3_u32 v6, 0, v22, v6
	v_mov_b32_e32 v133, v43
	v_mov_b32_e32 v135, v39
	s_waitcnt lgkmcnt(0)
	v_pk_add_f32 v[22:23], v[2:3], v[144:145] neg_lo:[0,1] neg_hi:[0,1]
	ds_read_b64 v[50:51], v119
	ds_read_b64 v[52:53], v117
	;; [unrolled: 1-line block ×12, first 2 shown]
	v_pk_fma_f32 v[2:3], v[2:3], 2.0, v[22:23] op_sel_hi:[1,0,1] neg_lo:[0,0,1] neg_hi:[0,0,1]
	s_waitcnt lgkmcnt(0)
	s_barrier
	ds_write2_b64 v6, v[2:3], v[22:23] offset1:120
	v_pk_add_f32 v[2:3], v[4:5], v[140:141] neg_lo:[0,1] neg_hi:[0,1]
	v_mul_u32_u24_e32 v6, 0x780, v191
	v_pk_fma_f32 v[4:5], v[4:5], 2.0, v[2:3] op_sel_hi:[1,0,1] neg_lo:[0,0,1] neg_hi:[0,0,1]
	v_add3_u32 v6, 0, v6, v16
	ds_write2_b64 v6, v[4:5], v[2:3] offset1:120
	v_perm_b32 v2, v188, v190, s11
	v_pk_mul_lo_u16 v6, v2, s12 op_sel_hi:[1,0]
	v_mov_b32_e32 v125, v33
	v_and_b32_e32 v2, 0xff80, v6
	v_add3_u32 v16, 0, v2, v112
	v_pk_add_f32 v[2:3], v[162:163], v[142:143] neg_lo:[0,1] neg_hi:[0,1]
	v_mov_b32_e32 v127, v31
	v_pk_fma_f32 v[4:5], v[162:163], 2.0, v[2:3] op_sel_hi:[1,0,1] neg_lo:[0,0,1] neg_hi:[0,0,1]
	ds_write2_b64 v16, v[4:5], v[2:3] offset1:120
	v_lshrrev_b32_e32 v2, 16, v6
	v_add3_u32 v6, 0, v2, v189
	v_pk_add_f32 v[2:3], v[160:161], v[136:137] neg_lo:[0,1] neg_hi:[0,1]
	v_mov_b32_e32 v123, v27
	v_pk_fma_f32 v[4:5], v[160:161], 2.0, v[2:3] op_sel_hi:[1,0,1] neg_lo:[0,0,1] neg_hi:[0,0,1]
	ds_write2_b64 v6, v[4:5], v[2:3] offset1:120
	v_perm_b32 v6, v184, v186, s11
	v_pk_mul_lo_u16 v6, v6, s12 op_sel_hi:[1,0]
	v_pk_add_f32 v[2:3], v[20:21], v[138:139] neg_lo:[0,1] neg_hi:[0,1]
	v_and_b32_e32 v16, 0xff80, v6
	v_pk_fma_f32 v[4:5], v[20:21], 2.0, v[2:3] op_sel_hi:[1,0,1] neg_lo:[0,0,1] neg_hi:[0,0,1]
	v_add3_u32 v16, 0, v16, v187
	ds_write2_b64 v16, v[4:5], v[2:3] offset1:120
	v_lshrrev_b32_e32 v2, 16, v6
	v_add3_u32 v6, 0, v2, v185
	v_pk_add_f32 v[2:3], v[158:159], v[132:133] neg_lo:[0,1] neg_hi:[0,1]
	v_mov_b32_e32 v55, v25
	v_pk_fma_f32 v[4:5], v[158:159], 2.0, v[2:3] op_sel_hi:[1,0,1] neg_lo:[0,0,1] neg_hi:[0,0,1]
	ds_write2_b64 v6, v[4:5], v[2:3] offset1:120
	v_mul_u32_u24_e32 v2, 0x780, v182
	v_add3_u32 v6, 0, v2, v183
	v_pk_add_f32 v[2:3], v[156:157], v[134:135] neg_lo:[0,1] neg_hi:[0,1]
	v_mov_b32_e32 v57, v7
	v_pk_fma_f32 v[4:5], v[156:157], 2.0, v[2:3] op_sel_hi:[1,0,1] neg_lo:[0,0,1] neg_hi:[0,0,1]
	ds_write2_b64 v6, v[4:5], v[2:3] offset1:120
	v_mul_u32_u24_e32 v2, 0x780, v180
	v_add3_u32 v6, 0, v2, v181
	v_pk_add_f32 v[2:3], v[154:155], v[128:129] neg_lo:[0,1] neg_hi:[0,1]
	v_lshrrev_b32_e32 v112, 23, v166
	v_pk_fma_f32 v[4:5], v[154:155], 2.0, v[2:3] op_sel_hi:[1,0,1] neg_lo:[0,0,1] neg_hi:[0,0,1]
	ds_write2_b64 v6, v[4:5], v[2:3] offset1:120
	v_mul_u32_u24_e32 v2, 0x780, v178
	v_add3_u32 v6, 0, v2, v179
	v_pk_add_f32 v[2:3], v[152:153], v[130:131] neg_lo:[0,1] neg_hi:[0,1]
	v_lshrrev_b32_e32 v166, 23, v17
	v_pk_fma_f32 v[4:5], v[152:153], 2.0, v[2:3] op_sel_hi:[1,0,1] neg_lo:[0,0,1] neg_hi:[0,0,1]
	ds_write2_b64 v6, v[4:5], v[2:3] offset1:120
	v_mul_u32_u24_e32 v2, 0x780, v176
	v_add3_u32 v6, 0, v2, v177
	v_pk_add_f32 v[2:3], v[150:151], v[124:125] neg_lo:[0,1] neg_hi:[0,1]
	s_nop 0
	v_pk_fma_f32 v[4:5], v[150:151], 2.0, v[2:3] op_sel_hi:[1,0,1] neg_lo:[0,0,1] neg_hi:[0,0,1]
	ds_write2_b64 v6, v[4:5], v[2:3] offset1:120
	v_mul_u32_u24_e32 v2, 0x780, v173
	v_add3_u32 v6, 0, v2, v174
	v_pk_add_f32 v[2:3], v[148:149], v[126:127] neg_lo:[0,1] neg_hi:[0,1]
	s_nop 0
	v_pk_fma_f32 v[4:5], v[148:149], 2.0, v[2:3] op_sel_hi:[1,0,1] neg_lo:[0,0,1] neg_hi:[0,0,1]
	ds_write2_b64 v6, v[4:5], v[2:3] offset1:120
	v_mul_u32_u24_e32 v2, 0x780, v171
	v_add3_u32 v6, 0, v2, v172
	v_pk_add_f32 v[2:3], v[146:147], v[120:121] neg_lo:[0,1] neg_hi:[0,1]
	v_lshrrev_b32_e32 v172, 23, v18
	v_pk_fma_f32 v[4:5], v[146:147], 2.0, v[2:3] op_sel_hi:[1,0,1] neg_lo:[0,0,1] neg_hi:[0,0,1]
	ds_write2_b64 v6, v[4:5], v[2:3] offset1:120
	v_mul_u32_u24_e32 v2, 0x780, v169
	v_add3_u32 v6, 0, v2, v170
	v_pk_add_f32 v[2:3], v[144:145], v[122:123] neg_lo:[0,1] neg_hi:[0,1]
	v_lshrrev_b32_e32 v169, 23, v175
	v_pk_fma_f32 v[4:5], v[144:145], 2.0, v[2:3] op_sel_hi:[1,0,1] neg_lo:[0,0,1] neg_hi:[0,0,1]
	ds_write2_b64 v6, v[4:5], v[2:3] offset1:120
	v_mul_u32_u24_e32 v2, 0x780, v167
	v_add3_u32 v6, 0, v2, v168
	v_pk_add_f32 v[2:3], v[52:53], v[54:55] neg_lo:[0,1] neg_hi:[0,1]
	s_nop 0
	v_pk_fma_f32 v[4:5], v[52:53], 2.0, v[2:3] op_sel_hi:[1,0,1] neg_lo:[0,0,1] neg_hi:[0,0,1]
	ds_write2_b64 v6, v[4:5], v[2:3] offset1:120
	v_mul_u32_u24_e32 v2, 0x780, v164
	v_add3_u32 v6, 0, v2, v165
	v_pk_add_f32 v[2:3], v[50:51], v[56:57] neg_lo:[0,1] neg_hi:[0,1]
	s_nop 0
	v_pk_fma_f32 v[4:5], v[50:51], 2.0, v[2:3] op_sel_hi:[1,0,1] neg_lo:[0,0,1] neg_hi:[0,0,1]
	ds_write2_b64 v6, v[4:5], v[2:3] offset1:120
	v_lshrrev_b32_e32 v2, 23, v10
	v_mul_lo_u16_e32 v2, 0xf0, v2
	v_sub_u16_e32 v2, v108, v2
	v_lshlrev_b32_e32 v16, 3, v2
	v_mul_lo_u16_e32 v2, 0xf0, v112
	v_sub_u16_e32 v2, v118, v2
	v_lshlrev_b32_e32 v164, 3, v2
	v_lshrrev_b32_e32 v2, 23, v12
	v_mul_lo_u16_e32 v2, 0xf0, v2
	v_sub_u16_e32 v2, v116, v2
	v_lshlrev_b32_e32 v165, 3, v2
	v_mul_lo_u16_e32 v2, 0xf0, v166
	v_sub_u16_e32 v2, v114, v2
	v_lshlrev_b32_e32 v167, 3, v2
	v_lshrrev_b32_e32 v2, 23, v13
	v_mul_lo_u16_e32 v2, 0xf0, v2
	v_sub_u16_e32 v2, v110, v2
	s_waitcnt lgkmcnt(0)
	s_barrier
	global_load_dwordx2 v[4:5], v16, s[8:9] offset:1840
	global_load_dwordx2 v[28:29], v164, s[8:9] offset:1840
	global_load_dwordx2 v[30:31], v165, s[8:9] offset:1840
	v_lshlrev_b32_e32 v168, 3, v2
	v_mul_lo_u16_e32 v2, 0xf0, v169
	v_sub_u16_e32 v2, v106, v2
	v_lshlrev_b32_e32 v170, 3, v2
	v_lshrrev_b32_e32 v2, 23, v15
	v_mul_lo_u16_e32 v2, 0xf0, v2
	v_sub_u16_e32 v2, v94, v2
	v_lshlrev_b32_e32 v171, 3, v2
	v_mul_lo_u16_e32 v2, 0xf0, v172
	v_sub_u16_e32 v2, v67, v2
	global_load_dwordx2 v[32:33], v167, s[8:9] offset:1840
	global_load_dwordx2 v[34:35], v168, s[8:9] offset:1840
	;; [unrolled: 1-line block ×4, first 2 shown]
	v_lshlrev_b32_e32 v173, 3, v2
	v_mul_u32_u24_sdwa v2, v104, s5 dst_sel:DWORD dst_unused:UNUSED_PAD src0_sel:WORD_0 src1_sel:DWORD
	v_lshrrev_b32_e32 v174, 23, v2
	v_lshrrev_b32_e32 v3, 23, v8
	v_mul_lo_u16_e32 v2, 0xf0, v174
	v_mul_lo_u16_e32 v3, 0xf0, v3
	v_sub_u16_e32 v2, v104, v2
	v_sub_u16_e32 v3, v102, v3
	v_lshlrev_b32_e32 v102, 3, v3
	v_lshlrev_b32_e32 v104, 3, v2
	global_load_dwordx2 v[40:41], v173, s[8:9] offset:1840
	v_lshrrev_b32_e32 v2, 23, v9
	global_load_dwordx2 v[8:9], v102, s[8:9] offset:1840
	v_mul_lo_u16_e32 v2, 0xf0, v2
	v_sub_u16_e32 v2, v100, v2
	v_lshlrev_b32_e32 v100, 3, v2
	global_load_dwordx2 v[42:43], v104, s[8:9] offset:1840
	global_load_dwordx2 v[44:45], v100, s[8:9] offset:1840
	v_mul_lo_u16_e32 v2, 0xf0, v19
	v_sub_u16_e32 v2, v70, v2
	v_lshlrev_b32_e32 v175, 3, v2
	s_movk_i32 s5, 0xf0
	v_lshl_add_u64 v[6:7], s[8:9], 0, v[98:99]
	global_load_dwordx2 v[46:47], v175, s[8:9] offset:1840
	global_load_dwordx2 v[48:49], v[6:7], off offset:1968
	v_add_u32_e32 v2, 0xffffff90, v62
	v_cmp_gt_u32_e32 vcc, s5, v1
	v_mov_b32_e32 v51, v63
	ds_read2st64_b64 v[20:23], v65 offset0:56 offset1:58
	v_cndmask_b32_e32 v50, v2, v1, vcc
	v_lshl_add_u64 v[2:3], v[50:51], 3, s[8:9]
	global_load_dwordx2 v[52:53], v[2:3], off offset:1840
	v_lshl_add_u64 v[2:3], v[96:97], 3, s[8:9]
	global_load_dwordx2 v[54:55], v[2:3], off offset:1840
	ds_read2st64_b64 v[24:27], v65 offset0:52 offset1:54
	s_movk_i32 s5, 0xef
	v_cmp_lt_u32_e32 vcc, s5, v1
	s_movk_i32 s5, 0x1000
	v_mul_lo_u16_sdwa v10, v10, s10 dst_sel:DWORD dst_unused:UNUSED_PAD src0_sel:BYTE_3 src1_sel:DWORD
	v_sub_u16_e32 v10, v108, v10
	s_waitcnt vmcnt(14) lgkmcnt(1)
	v_pk_mul_f32 v[56:57], v[22:23], v[4:5] op_sel:[0,1]
	s_nop 0
	v_pk_fma_f32 v[96:97], v[22:23], v[4:5], v[56:57] op_sel:[0,0,1] op_sel_hi:[1,1,0] neg_lo:[0,0,1] neg_hi:[0,0,1]
	v_pk_fma_f32 v[4:5], v[22:23], v[4:5], v[56:57] op_sel:[0,0,1] op_sel_hi:[1,0,0]
	s_waitcnt vmcnt(13)
	v_pk_mul_f32 v[22:23], v[20:21], v[28:29] op_sel:[0,1]
	v_lshlrev_b32_e32 v4, 3, v50
	v_pk_fma_f32 v[56:57], v[20:21], v[28:29], v[22:23] op_sel:[0,0,1] op_sel_hi:[1,1,0] neg_lo:[0,0,1] neg_hi:[0,0,1]
	v_pk_fma_f32 v[98:99], v[20:21], v[28:29], v[22:23] op_sel:[0,0,1] op_sel_hi:[1,0,0]
	ds_read2st64_b64 v[20:23], v65 offset0:48 offset1:50
	s_waitcnt vmcnt(12) lgkmcnt(1)
	v_pk_mul_f32 v[28:29], v[26:27], v[30:31] op_sel:[0,1]
	v_mov_b32_e32 v57, v99
	v_pk_fma_f32 v[120:121], v[26:27], v[30:31], v[28:29] op_sel:[0,0,1] op_sel_hi:[1,1,0] neg_lo:[0,0,1] neg_hi:[0,0,1]
	v_pk_fma_f32 v[30:31], v[26:27], v[30:31], v[28:29] op_sel:[0,0,1] op_sel_hi:[1,0,0]
	s_waitcnt vmcnt(11)
	v_pk_mul_f32 v[26:27], v[24:25], v[32:33] op_sel:[0,1]
	s_waitcnt vmcnt(10) lgkmcnt(0)
	v_pk_mul_f32 v[28:29], v[22:23], v[34:35] op_sel:[0,1]
	v_pk_fma_f32 v[122:123], v[24:25], v[32:33], v[26:27] op_sel:[0,0,1] op_sel_hi:[1,1,0] neg_lo:[0,0,1] neg_hi:[0,0,1]
	v_pk_fma_f32 v[32:33], v[24:25], v[32:33], v[26:27] op_sel:[0,0,1] op_sel_hi:[1,0,0]
	ds_read2st64_b64 v[24:27], v65 offset0:44 offset1:46
	v_pk_fma_f32 v[124:125], v[22:23], v[34:35], v[28:29] op_sel:[0,0,1] op_sel_hi:[1,1,0] neg_lo:[0,0,1] neg_hi:[0,0,1]
	v_pk_fma_f32 v[34:35], v[22:23], v[34:35], v[28:29] op_sel:[0,0,1] op_sel_hi:[1,0,0]
	s_waitcnt vmcnt(9)
	v_pk_mul_f32 v[22:23], v[20:21], v[36:37] op_sel:[0,1]
	v_mov_b32_e32 v125, v35
	v_pk_fma_f32 v[126:127], v[20:21], v[36:37], v[22:23] op_sel:[0,0,1] op_sel_hi:[1,1,0] neg_lo:[0,0,1] neg_hi:[0,0,1]
	v_pk_fma_f32 v[36:37], v[20:21], v[36:37], v[22:23] op_sel:[0,0,1] op_sel_hi:[1,0,0]
	ds_read2st64_b64 v[20:23], v65 offset0:40 offset1:42
	s_waitcnt vmcnt(8) lgkmcnt(1)
	v_pk_mul_f32 v[28:29], v[26:27], v[38:39] op_sel:[0,1]
	v_mov_b32_e32 v127, v37
	v_pk_fma_f32 v[128:129], v[26:27], v[38:39], v[28:29] op_sel:[0,0,1] op_sel_hi:[1,1,0] neg_lo:[0,0,1] neg_hi:[0,0,1]
	v_pk_fma_f32 v[38:39], v[26:27], v[38:39], v[28:29] op_sel:[0,0,1] op_sel_hi:[1,0,0]
	s_waitcnt vmcnt(7)
	v_pk_mul_f32 v[26:27], v[24:25], v[40:41] op_sel:[0,1]
	s_waitcnt vmcnt(6) lgkmcnt(0)
	v_pk_mul_f32 v[28:29], v[22:23], v[8:9] op_sel:[0,1]
	v_pk_fma_f32 v[130:131], v[24:25], v[40:41], v[26:27] op_sel:[0,0,1] op_sel_hi:[1,1,0] neg_lo:[0,0,1] neg_hi:[0,0,1]
	v_pk_fma_f32 v[40:41], v[24:25], v[40:41], v[26:27] op_sel:[0,0,1] op_sel_hi:[1,0,0]
	ds_read2st64_b64 v[24:27], v65 offset0:36 offset1:38
	v_pk_fma_f32 v[132:133], v[22:23], v[8:9], v[28:29] op_sel:[0,0,1] op_sel_hi:[1,1,0] neg_lo:[0,0,1] neg_hi:[0,0,1]
	v_pk_fma_f32 v[8:9], v[22:23], v[8:9], v[28:29] op_sel:[0,0,1] op_sel_hi:[1,0,0]
	s_waitcnt vmcnt(5)
	v_pk_mul_f32 v[22:23], v[20:21], v[42:43] op_sel:[0,1]
	v_mov_b32_e32 v8, 0xf00
	v_pk_fma_f32 v[134:135], v[20:21], v[42:43], v[22:23] op_sel:[0,0,1] op_sel_hi:[1,1,0] neg_lo:[0,0,1] neg_hi:[0,0,1]
	v_pk_fma_f32 v[42:43], v[20:21], v[42:43], v[22:23] op_sel:[0,0,1] op_sel_hi:[1,0,0]
	ds_read2st64_b64 v[20:23], v65 offset0:32 offset1:34
	s_waitcnt vmcnt(4) lgkmcnt(1)
	v_pk_mul_f32 v[28:29], v[26:27], v[44:45] op_sel:[0,1]
	v_cndmask_b32_e32 v1, 0, v8, vcc
	v_pk_fma_f32 v[136:137], v[26:27], v[44:45], v[28:29] op_sel:[0,0,1] op_sel_hi:[1,1,0] neg_lo:[0,0,1] neg_hi:[0,0,1]
	v_pk_fma_f32 v[44:45], v[26:27], v[44:45], v[28:29] op_sel:[0,0,1] op_sel_hi:[1,0,0]
	s_waitcnt vmcnt(3)
	v_pk_mul_f32 v[26:27], v[24:25], v[46:47] op_sel:[0,1]
	v_add3_u32 v1, 0, v1, v4
	v_pk_fma_f32 v[138:139], v[24:25], v[46:47], v[26:27] op_sel:[0,0,1] op_sel_hi:[1,1,0] neg_lo:[0,0,1] neg_hi:[0,0,1]
	v_pk_fma_f32 v[46:47], v[24:25], v[46:47], v[26:27] op_sel:[0,0,1] op_sel_hi:[1,0,0]
	s_waitcnt vmcnt(2) lgkmcnt(0)
	v_pk_mul_f32 v[24:25], v[48:49], v[22:23] op_sel:[0,1]
	s_waitcnt vmcnt(1)
	v_pk_mul_f32 v[26:27], v[52:53], v[20:21] op_sel:[0,1]
	v_pk_fma_f32 v[140:141], v[48:49], v[22:23], v[24:25] op_sel:[0,0,1] op_sel_hi:[1,1,0] neg_lo:[0,0,1] neg_hi:[0,0,1]
	v_pk_fma_f32 v[48:49], v[48:49], v[22:23], v[24:25] op_sel:[0,0,1] op_sel_hi:[1,0,0]
	ds_read2st64_b64 v[22:25], v65 offset0:8 offset1:30
	v_pk_fma_f32 v[142:143], v[52:53], v[20:21], v[26:27] op_sel:[0,0,1] op_sel_hi:[1,1,0] neg_lo:[0,0,1] neg_hi:[0,0,1]
	v_pk_fma_f32 v[20:21], v[52:53], v[20:21], v[26:27] op_sel:[0,0,1] op_sel_hi:[1,0,0]
	ds_read2st64_b64 v[26:29], v65 offset1:2
	v_mov_b32_e32 v143, v21
	s_waitcnt vmcnt(0) lgkmcnt(1)
	v_pk_mul_f32 v[52:53], v[54:55], v[24:25] op_sel:[0,1]
	v_mov_b32_e32 v141, v49
	v_pk_fma_f32 v[144:145], v[54:55], v[24:25], v[52:53] op_sel:[0,0,1] op_sel_hi:[1,1,0] neg_lo:[0,0,1] neg_hi:[0,0,1]
	v_pk_fma_f32 v[24:25], v[54:55], v[24:25], v[52:53] op_sel:[0,0,1] op_sel_hi:[1,0,0]
	s_waitcnt lgkmcnt(0)
	v_pk_add_f32 v[20:21], v[28:29], v[142:143] neg_lo:[0,1] neg_hi:[0,1]
	v_mov_b32_e32 v145, v25
	v_pk_add_f32 v[24:25], v[26:27], v[144:145] neg_lo:[0,1] neg_hi:[0,1]
	ds_read_b64 v[52:53], v113
	ds_read_b64 v[54:55], v119
	;; [unrolled: 1-line block ×12, first 2 shown]
	v_pk_fma_f32 v[26:27], v[26:27], 2.0, v[24:25] op_sel_hi:[1,0,1] neg_lo:[0,0,1] neg_hi:[0,0,1]
	s_waitcnt lgkmcnt(0)
	s_barrier
	ds_write2_b64 v65, v[26:27], v[24:25] offset1:240
	v_pk_fma_f32 v[24:25], v[28:29], 2.0, v[20:21] op_sel_hi:[1,0,1] neg_lo:[0,0,1] neg_hi:[0,0,1]
	ds_write2_b64 v1, v[24:25], v[20:21] offset1:240
	v_pk_add_f32 v[20:21], v[52:53], v[140:141] neg_lo:[0,1] neg_hi:[0,1]
	v_add_u32_e32 v1, 0xf80, v65
	v_pk_fma_f32 v[24:25], v[52:53], 2.0, v[20:21] op_sel_hi:[1,0,1] neg_lo:[0,0,1] neg_hi:[0,0,1]
	v_mov_b32_e32 v139, v47
	ds_write2_b64 v1, v[24:25], v[20:21] offset1:240
	v_mul_u32_u24_e32 v1, 0xf00, v19
	v_pk_add_f32 v[20:21], v[162:163], v[138:139] neg_lo:[0,1] neg_hi:[0,1]
	v_add3_u32 v1, 0, v1, v175
	v_pk_fma_f32 v[24:25], v[162:163], 2.0, v[20:21] op_sel_hi:[1,0,1] neg_lo:[0,0,1] neg_hi:[0,0,1]
	v_mov_b32_e32 v137, v45
	ds_write2_b64 v1, v[24:25], v[20:21] offset1:240
	v_pk_add_f32 v[20:21], v[22:23], v[136:137] neg_lo:[0,1] neg_hi:[0,1]
	v_add_u32_e32 v1, 0, v100
	v_pk_fma_f32 v[22:23], v[22:23], 2.0, v[20:21] op_sel_hi:[1,0,1] neg_lo:[0,0,1] neg_hi:[0,0,1]
	v_add_u32_e32 v1, 0x1e00, v1
	v_mov_b32_e32 v135, v43
	ds_write2_b64 v1, v[22:23], v[20:21] offset1:240
	v_mul_u32_u24_e32 v1, 0xf00, v174
	v_pk_add_f32 v[20:21], v[160:161], v[134:135] neg_lo:[0,1] neg_hi:[0,1]
	v_add3_u32 v1, 0, v1, v104
	v_pk_fma_f32 v[22:23], v[160:161], 2.0, v[20:21] op_sel_hi:[1,0,1] neg_lo:[0,0,1] neg_hi:[0,0,1]
	v_mov_b32_e32 v133, v9
	ds_write2_b64 v1, v[22:23], v[20:21] offset1:240
	v_add_u32_e32 v1, 0, v102
	v_pk_add_f32 v[8:9], v[158:159], v[132:133] neg_lo:[0,1] neg_hi:[0,1]
	v_add_u32_e32 v1, 0x2d00, v1
	v_pk_fma_f32 v[20:21], v[158:159], 2.0, v[8:9] op_sel_hi:[1,0,1] neg_lo:[0,0,1] neg_hi:[0,0,1]
	v_mov_b32_e32 v131, v41
	ds_write2_b64 v1, v[20:21], v[8:9] offset1:240
	v_mul_u32_u24_e32 v1, 0xf00, v172
	v_pk_add_f32 v[8:9], v[156:157], v[130:131] neg_lo:[0,1] neg_hi:[0,1]
	v_add3_u32 v1, 0, v1, v173
	v_pk_fma_f32 v[20:21], v[156:157], 2.0, v[8:9] op_sel_hi:[1,0,1] neg_lo:[0,0,1] neg_hi:[0,0,1]
	v_mov_b32_e32 v129, v39
	ds_write2_b64 v1, v[20:21], v[8:9] offset1:240
	v_add_u32_e32 v1, 0, v171
	v_pk_add_f32 v[8:9], v[154:155], v[128:129] neg_lo:[0,1] neg_hi:[0,1]
	v_add_u32_e32 v1, 0x3c00, v1
	v_pk_fma_f32 v[20:21], v[154:155], 2.0, v[8:9] op_sel_hi:[1,0,1] neg_lo:[0,0,1] neg_hi:[0,0,1]
	ds_write2_b64 v1, v[20:21], v[8:9] offset1:240
	v_mul_u32_u24_e32 v1, 0xf00, v169
	v_pk_add_f32 v[8:9], v[152:153], v[126:127] neg_lo:[0,1] neg_hi:[0,1]
	v_add3_u32 v1, 0, v1, v170
	v_pk_fma_f32 v[20:21], v[152:153], 2.0, v[8:9] op_sel_hi:[1,0,1] neg_lo:[0,0,1] neg_hi:[0,0,1]
	ds_write2_b64 v1, v[20:21], v[8:9] offset1:240
	v_add_u32_e32 v1, 0, v168
	v_pk_add_f32 v[8:9], v[150:151], v[124:125] neg_lo:[0,1] neg_hi:[0,1]
	v_add_u32_e32 v1, 0x4b00, v1
	v_pk_fma_f32 v[20:21], v[150:151], 2.0, v[8:9] op_sel_hi:[1,0,1] neg_lo:[0,0,1] neg_hi:[0,0,1]
	v_mov_b32_e32 v123, v33
	ds_write2_b64 v1, v[20:21], v[8:9] offset1:240
	v_mul_u32_u24_e32 v1, 0xf00, v166
	v_pk_add_f32 v[8:9], v[148:149], v[122:123] neg_lo:[0,1] neg_hi:[0,1]
	v_add3_u32 v1, 0, v1, v167
	v_pk_fma_f32 v[20:21], v[148:149], 2.0, v[8:9] op_sel_hi:[1,0,1] neg_lo:[0,0,1] neg_hi:[0,0,1]
	v_mov_b32_e32 v121, v31
	ds_write2_b64 v1, v[20:21], v[8:9] offset1:240
	v_add_u32_e32 v1, 0, v165
	v_pk_add_f32 v[8:9], v[146:147], v[120:121] neg_lo:[0,1] neg_hi:[0,1]
	v_add_u32_e32 v1, 0x5a00, v1
	v_pk_fma_f32 v[20:21], v[146:147], 2.0, v[8:9] op_sel_hi:[1,0,1] neg_lo:[0,0,1] neg_hi:[0,0,1]
	ds_write2_b64 v1, v[20:21], v[8:9] offset1:240
	v_mul_u32_u24_e32 v1, 0xf00, v112
	v_pk_add_f32 v[8:9], v[144:145], v[56:57] neg_lo:[0,1] neg_hi:[0,1]
	v_add3_u32 v1, 0, v1, v164
	v_pk_fma_f32 v[20:21], v[144:145], 2.0, v[8:9] op_sel_hi:[1,0,1] neg_lo:[0,0,1] neg_hi:[0,0,1]
	v_mov_b32_e32 v97, v5
	ds_write2_b64 v1, v[20:21], v[8:9] offset1:240
	v_add_u32_e32 v1, 0, v16
	v_pk_add_f32 v[4:5], v[54:55], v[96:97] neg_lo:[0,1] neg_hi:[0,1]
	v_add_u32_e32 v1, 0x6900, v1
	v_pk_fma_f32 v[8:9], v[54:55], 2.0, v[4:5] op_sel_hi:[1,0,1] neg_lo:[0,0,1] neg_hi:[0,0,1]
	ds_write2_b64 v1, v[8:9], v[4:5] offset1:240
	v_add_co_u32_e32 v8, vcc, s5, v6
	s_waitcnt lgkmcnt(0)
	s_nop 0
	v_addc_co_u32_e32 v9, vcc, 0, v7, vcc
	s_barrier
	global_load_dwordx2 v[24:25], v[8:9], off offset:688
	v_lshl_add_u64 v[4:5], s[8:9], 0, v[92:93]
	global_load_dwordx2 v[26:27], v[4:5], off offset:3760
	v_mul_lo_u16_sdwa v1, v18, s10 dst_sel:DWORD dst_unused:UNUSED_PAD src0_sel:BYTE_3 src1_sel:DWORD
	v_sub_u16_e32 v1, v67, v1
	v_lshlrev_b32_e32 v1, 3, v1
	global_load_dwordx2 v[28:29], v1, s[8:9] offset:3760
	global_load_dwordx2 v[30:31], v[8:9], off offset:1968
	global_load_dwordx2 v[32:33], v[8:9], off offset:944
	v_lshlrev_b32_e32 v16, 3, v10
	v_lshlrev_b32_e32 v19, 3, v11
	global_load_dwordx2 v[34:35], v16, s[8:9] offset:3760
	global_load_dwordx2 v[36:37], v19, s[8:9] offset:3760
	v_mul_lo_u16_sdwa v11, v12, s10 dst_sel:DWORD dst_unused:UNUSED_PAD src0_sel:BYTE_3 src1_sel:DWORD
	v_mul_lo_u16_sdwa v10, v17, s10 dst_sel:DWORD dst_unused:UNUSED_PAD src0_sel:BYTE_3 src1_sel:DWORD
	v_sub_u16_e32 v11, v116, v11
	v_sub_u16_e32 v10, v114, v10
	v_lshlrev_b32_e32 v100, 3, v11
	global_load_dwordx2 v[38:39], v100, s[8:9] offset:3760
	v_lshlrev_b32_e32 v102, 3, v10
	v_mul_lo_u16_sdwa v11, v13, s10 dst_sel:DWORD dst_unused:UNUSED_PAD src0_sel:BYTE_3 src1_sel:DWORD
	v_mul_lo_u16_sdwa v10, v14, s10 dst_sel:DWORD dst_unused:UNUSED_PAD src0_sel:BYTE_3 src1_sel:DWORD
	global_load_dwordx2 v[40:41], v102, s[8:9] offset:3760
	v_sub_u16_e32 v11, v110, v11
	v_lshlrev_b32_e32 v104, 3, v11
	global_load_dwordx2 v[42:43], v104, s[8:9] offset:3760
	v_sub_u16_e32 v10, v106, v10
	v_lshlrev_b32_e32 v106, 3, v10
	v_mul_lo_u16_sdwa v10, v15, s10 dst_sel:DWORD dst_unused:UNUSED_PAD src0_sel:BYTE_3 src1_sel:DWORD
	global_load_dwordx2 v[14:15], v106, s[8:9] offset:3760
	v_sub_u16_e32 v10, v94, v10
	v_lshlrev_b32_e32 v94, 3, v10
	global_load_dwordx2 v[44:45], v94, s[8:9] offset:3760
	v_add_u32_e32 v10, 0xffffffa0, v62
	v_cmp_gt_u32_e32 vcc, s10, v70
	s_movk_i32 s10, 0x1df
	s_nop 0
	v_cndmask_b32_e32 v62, v10, v70, vcc
	v_lshl_add_u64 v[10:11], v[62:63], 3, s[8:9]
	global_load_dwordx2 v[46:47], v[10:11], off offset:3760
	global_load_dwordx2 v[48:49], v[6:7], off offset:4016
	;; [unrolled: 1-line block ×3, first 2 shown]
	ds_read2st64_b64 v[10:13], v65 offset0:32 offset1:34
	ds_read2st64_b64 v[20:23], v65 offset0:40 offset1:42
	v_cmp_lt_u32_e32 vcc, s10, v70
	s_movk_i32 s10, 0x1e00
	s_waitcnt vmcnt(14) lgkmcnt(1)
	v_pk_mul_f32 v[52:53], v[24:25], v[10:11] op_sel:[0,1]
	s_nop 0
	v_pk_fma_f32 v[54:55], v[24:25], v[10:11], v[52:53] op_sel:[0,0,1] op_sel_hi:[1,1,0] neg_lo:[0,0,1] neg_hi:[0,0,1]
	v_pk_fma_f32 v[24:25], v[24:25], v[10:11], v[52:53] op_sel:[0,0,1] op_sel_hi:[1,0,0]
	s_waitcnt vmcnt(13)
	v_pk_mul_f32 v[10:11], v[26:27], v[12:13] op_sel:[0,1]
	v_mov_b32_e32 v55, v25
	v_pk_fma_f32 v[52:53], v[26:27], v[12:13], v[10:11] op_sel:[0,0,1] op_sel_hi:[1,1,0] neg_lo:[0,0,1] neg_hi:[0,0,1]
	v_pk_fma_f32 v[26:27], v[26:27], v[12:13], v[10:11] op_sel:[0,0,1] op_sel_hi:[1,0,0]
	ds_read2st64_b64 v[10:13], v65 offset0:56 offset1:58
	s_waitcnt vmcnt(10) lgkmcnt(1)
	v_pk_mul_f32 v[56:57], v[20:21], v[32:33] op_sel:[0,1]
	v_mov_b32_e32 v53, v27
	v_pk_fma_f32 v[92:93], v[20:21], v[32:33], v[56:57] op_sel:[0,0,1] op_sel_hi:[1,1,0] neg_lo:[0,0,1] neg_hi:[0,0,1]
	v_pk_fma_f32 v[32:33], v[20:21], v[32:33], v[56:57] op_sel:[0,0,1] op_sel_hi:[1,0,0]
	v_pk_mul_f32 v[20:21], v[22:23], v[30:31] op_sel:[0,1]
	s_waitcnt vmcnt(9) lgkmcnt(0)
	v_pk_mul_f32 v[96:97], v[12:13], v[34:35] op_sel:[0,1]
	v_pk_fma_f32 v[56:57], v[22:23], v[30:31], v[20:21] op_sel:[0,0,1] op_sel_hi:[1,1,0] neg_lo:[0,0,1] neg_hi:[0,0,1]
	v_pk_fma_f32 v[30:31], v[22:23], v[30:31], v[20:21] op_sel:[0,0,1] op_sel_hi:[1,0,0]
	ds_read2st64_b64 v[20:23], v65 offset0:52 offset1:54
	v_pk_fma_f32 v[98:99], v[12:13], v[34:35], v[96:97] op_sel:[0,0,1] op_sel_hi:[1,1,0] neg_lo:[0,0,1] neg_hi:[0,0,1]
	v_pk_fma_f32 v[34:35], v[12:13], v[34:35], v[96:97] op_sel:[0,0,1] op_sel_hi:[1,0,0]
	s_waitcnt vmcnt(8)
	v_pk_mul_f32 v[12:13], v[10:11], v[36:37] op_sel:[0,1]
	v_mov_b32_e32 v93, v33
	v_pk_fma_f32 v[96:97], v[10:11], v[36:37], v[12:13] op_sel:[0,0,1] op_sel_hi:[1,1,0] neg_lo:[0,0,1] neg_hi:[0,0,1]
	v_pk_fma_f32 v[36:37], v[10:11], v[36:37], v[12:13] op_sel:[0,0,1] op_sel_hi:[1,0,0]
	ds_read2st64_b64 v[10:13], v65 offset0:48 offset1:50
	s_waitcnt vmcnt(7) lgkmcnt(1)
	v_pk_mul_f32 v[120:121], v[22:23], v[38:39] op_sel:[0,1]
	v_mov_b32_e32 v57, v31
	v_pk_fma_f32 v[122:123], v[22:23], v[38:39], v[120:121] op_sel:[0,0,1] op_sel_hi:[1,1,0] neg_lo:[0,0,1] neg_hi:[0,0,1]
	v_pk_fma_f32 v[38:39], v[22:23], v[38:39], v[120:121] op_sel:[0,0,1] op_sel_hi:[1,0,0]
	s_waitcnt vmcnt(6)
	v_pk_mul_f32 v[22:23], v[20:21], v[40:41] op_sel:[0,1]
	s_waitcnt vmcnt(5) lgkmcnt(0)
	v_pk_mul_f32 v[124:125], v[12:13], v[42:43] op_sel:[0,1]
	v_pk_fma_f32 v[120:121], v[20:21], v[40:41], v[22:23] op_sel:[0,0,1] op_sel_hi:[1,1,0] neg_lo:[0,0,1] neg_hi:[0,0,1]
	v_pk_fma_f32 v[40:41], v[20:21], v[40:41], v[22:23] op_sel:[0,0,1] op_sel_hi:[1,0,0]
	ds_read2st64_b64 v[20:23], v65 offset0:44 offset1:46
	v_pk_fma_f32 v[126:127], v[12:13], v[42:43], v[124:125] op_sel:[0,0,1] op_sel_hi:[1,1,0] neg_lo:[0,0,1] neg_hi:[0,0,1]
	v_pk_fma_f32 v[42:43], v[12:13], v[42:43], v[124:125] op_sel:[0,0,1] op_sel_hi:[1,0,0]
	s_waitcnt vmcnt(4)
	v_pk_mul_f32 v[12:13], v[10:11], v[14:15] op_sel:[0,1]
	v_mov_b32_e32 v127, v43
	v_pk_fma_f32 v[124:125], v[10:11], v[14:15], v[12:13] op_sel:[0,0,1] op_sel_hi:[1,1,0] neg_lo:[0,0,1] neg_hi:[0,0,1]
	v_pk_fma_f32 v[14:15], v[10:11], v[14:15], v[12:13] op_sel:[0,0,1] op_sel_hi:[1,0,0]
	ds_read2st64_b64 v[10:13], v65 offset0:36 offset1:38
	s_waitcnt vmcnt(3) lgkmcnt(1)
	v_pk_mul_f32 v[128:129], v[22:23], v[44:45] op_sel:[0,1]
	v_add_u32_e32 v14, 0x100, v65
	v_pk_fma_f32 v[130:131], v[22:23], v[44:45], v[128:129] op_sel:[0,0,1] op_sel_hi:[1,1,0] neg_lo:[0,0,1] neg_hi:[0,0,1]
	v_pk_fma_f32 v[44:45], v[22:23], v[44:45], v[128:129] op_sel:[0,0,1] op_sel_hi:[1,0,0]
	v_pk_mul_f32 v[22:23], v[20:21], v[28:29] op_sel:[0,1]
	s_waitcnt vmcnt(1) lgkmcnt(0)
	v_pk_mul_f32 v[132:133], v[12:13], v[48:49] op_sel:[0,1]
	v_pk_fma_f32 v[128:129], v[20:21], v[28:29], v[22:23] op_sel:[0,0,1] op_sel_hi:[1,1,0] neg_lo:[0,0,1] neg_hi:[0,0,1]
	v_pk_fma_f32 v[28:29], v[20:21], v[28:29], v[22:23] op_sel:[0,0,1] op_sel_hi:[1,0,0]
	ds_read2st64_b64 v[20:23], v65 offset0:8 offset1:30
	v_pk_fma_f32 v[134:135], v[12:13], v[48:49], v[132:133] op_sel:[0,0,1] op_sel_hi:[1,1,0] neg_lo:[0,0,1] neg_hi:[0,0,1]
	v_pk_fma_f32 v[48:49], v[12:13], v[48:49], v[132:133] op_sel:[0,0,1] op_sel_hi:[1,0,0]
	v_pk_mul_f32 v[12:13], v[10:11], v[46:47] op_sel:[0,1]
	v_mov_b32_e32 v135, v49
	v_pk_fma_f32 v[132:133], v[10:11], v[46:47], v[12:13] op_sel:[0,0,1] op_sel_hi:[1,1,0] neg_lo:[0,0,1] neg_hi:[0,0,1]
	v_pk_fma_f32 v[46:47], v[10:11], v[46:47], v[12:13] op_sel:[0,0,1] op_sel_hi:[1,0,0]
	ds_read2st64_b64 v[10:13], v65 offset1:2
	s_waitcnt vmcnt(0) lgkmcnt(1)
	v_pk_mul_f32 v[136:137], v[50:51], v[22:23] op_sel:[0,1]
	v_mov_b32_e32 v133, v47
	v_pk_fma_f32 v[138:139], v[50:51], v[22:23], v[136:137] op_sel:[0,0,1] op_sel_hi:[1,1,0] neg_lo:[0,0,1] neg_hi:[0,0,1]
	v_pk_fma_f32 v[22:23], v[50:51], v[22:23], v[136:137] op_sel:[0,0,1] op_sel_hi:[1,0,0]
	s_waitcnt lgkmcnt(0)
	v_pk_add_f32 v[24:25], v[12:13], v[54:55] neg_lo:[0,1] neg_hi:[0,1]
	v_mov_b32_e32 v139, v23
	v_pk_add_f32 v[22:23], v[10:11], v[138:139] neg_lo:[0,1] neg_hi:[0,1]
	v_pk_fma_f32 v[12:13], v[12:13], 2.0, v[24:25] op_sel_hi:[1,0,1] neg_lo:[0,0,1] neg_hi:[0,0,1]
	v_pk_fma_f32 v[10:11], v[10:11], 2.0, v[22:23] op_sel_hi:[1,0,1] neg_lo:[0,0,1] neg_hi:[0,0,1]
	ds_read_b64 v[50:51], v113
	ds_read_b64 v[54:55], v119
	;; [unrolled: 1-line block ×12, first 2 shown]
	s_waitcnt lgkmcnt(0)
	s_barrier
	ds_write2st64_b64 v65, v[10:11], v[12:13] offset1:2
	v_pk_add_f32 v[10:11], v[50:51], v[52:53] neg_lo:[0,1] neg_hi:[0,1]
	ds_write2st64_b64 v14, v[22:23], v[24:25] offset0:7 offset1:9
	v_pk_fma_f32 v[12:13], v[50:51], 2.0, v[10:11] op_sel_hi:[1,0,1] neg_lo:[0,0,1] neg_hi:[0,0,1]
	ds_write_b64 v113, v[12:13]
	ds_write_b64 v113, v[10:11] offset:3840
	v_mov_b32_e32 v10, 0x1e00
	v_cndmask_b32_e32 v10, 0, v10, vcc
	v_lshlrev_b32_e32 v11, 3, v62
	v_add3_u32 v22, 0, v10, v11
	v_pk_add_f32 v[10:11], v[154:155], v[132:133] neg_lo:[0,1] neg_hi:[0,1]
	v_mov_b32_e32 v129, v29
	v_pk_fma_f32 v[12:13], v[154:155], 2.0, v[10:11] op_sel_hi:[1,0,1] neg_lo:[0,0,1] neg_hi:[0,0,1]
	ds_write_b64 v22, v[12:13]
	ds_write_b64 v22, v[10:11] offset:3840
	v_pk_add_f32 v[10:11], v[20:21], v[134:135] neg_lo:[0,1] neg_hi:[0,1]
	v_mov_b32_e32 v131, v45
	v_pk_fma_f32 v[12:13], v[20:21], 2.0, v[10:11] op_sel_hi:[1,0,1] neg_lo:[0,0,1] neg_hi:[0,0,1]
	v_pk_add_f32 v[20:21], v[152:153], v[92:93] neg_lo:[0,1] neg_hi:[0,1]
	v_mov_b32_e32 v125, v15
	v_pk_fma_f32 v[22:23], v[152:153], 2.0, v[20:21] op_sel_hi:[1,0,1] neg_lo:[0,0,1] neg_hi:[0,0,1]
	ds_write2st64_b64 v14, v[12:13], v[22:23] offset0:15 offset1:17
	v_pk_add_f32 v[12:13], v[150:151], v[56:57] neg_lo:[0,1] neg_hi:[0,1]
	v_add_u32_e32 v14, 0x2700, v65
	v_pk_fma_f32 v[22:23], v[150:151], 2.0, v[12:13] op_sel_hi:[1,0,1] neg_lo:[0,0,1] neg_hi:[0,0,1]
	ds_write2_b64 v14, v[22:23], v[10:11] offset1:224
	ds_write2st64_b64 v65, v[20:21], v[12:13] offset0:25 offset1:27
	v_mul_u32_u24_sdwa v10, v18, s10 dst_sel:DWORD dst_unused:UNUSED_PAD src0_sel:BYTE_3 src1_sel:DWORD
	v_add3_u32 v1, 0, v10, v1
	v_pk_add_f32 v[10:11], v[148:149], v[128:129] neg_lo:[0,1] neg_hi:[0,1]
	v_mov_b32_e32 v121, v41
	v_pk_fma_f32 v[12:13], v[148:149], 2.0, v[10:11] op_sel_hi:[1,0,1] neg_lo:[0,0,1] neg_hi:[0,0,1]
	ds_write_b64 v1, v[12:13]
	ds_write_b64 v1, v[10:11] offset:3840
	v_pk_add_f32 v[10:11], v[146:147], v[130:131] neg_lo:[0,1] neg_hi:[0,1]
	v_add_u32_e32 v1, 0, v94
	v_pk_fma_f32 v[12:13], v[146:147], 2.0, v[10:11] op_sel_hi:[1,0,1] neg_lo:[0,0,1] neg_hi:[0,0,1]
	ds_write_b64 v1, v[12:13] offset:15360
	ds_write_b64 v1, v[10:11] offset:19200
	v_pk_add_f32 v[10:11], v[144:145], v[124:125] neg_lo:[0,1] neg_hi:[0,1]
	v_add_u32_e32 v1, 0, v106
	v_pk_fma_f32 v[12:13], v[144:145], 2.0, v[10:11] op_sel_hi:[1,0,1] neg_lo:[0,0,1] neg_hi:[0,0,1]
	ds_write_b64 v1, v[12:13] offset:15360
	;; [unrolled: 5-line block ×3, first 2 shown]
	ds_write_b64 v1, v[10:11] offset:19200
	v_mul_u32_u24_sdwa v1, v17, s10 dst_sel:DWORD dst_unused:UNUSED_PAD src0_sel:BYTE_3 src1_sel:DWORD
	v_pk_add_f32 v[10:11], v[140:141], v[120:121] neg_lo:[0,1] neg_hi:[0,1]
	v_add3_u32 v1, 0, v1, v102
	v_pk_fma_f32 v[12:13], v[140:141], 2.0, v[10:11] op_sel_hi:[1,0,1] neg_lo:[0,0,1] neg_hi:[0,0,1]
	v_mov_b32_e32 v123, v39
	ds_write_b64 v1, v[12:13]
	ds_write_b64 v1, v[10:11] offset:3840
	v_pk_add_f32 v[10:11], v[138:139], v[122:123] neg_lo:[0,1] neg_hi:[0,1]
	v_mov_b32_e32 v97, v37
	v_add_u32_e32 v1, 0, v100
	v_pk_fma_f32 v[12:13], v[138:139], 2.0, v[10:11] op_sel_hi:[1,0,1] neg_lo:[0,0,1] neg_hi:[0,0,1]
	v_mov_b32_e32 v99, v35
	v_pk_add_f32 v[14:15], v[136:137], v[96:97] neg_lo:[0,1] neg_hi:[0,1]
	ds_write_b64 v1, v[12:13] offset:23040
	ds_write_b64 v1, v[10:11] offset:26880
	v_add_u32_e32 v1, 0, v19
	v_add_u32_e32 v18, 0, v16
	v_pk_add_f32 v[10:11], v[54:55], v[98:99] neg_lo:[0,1] neg_hi:[0,1]
	v_pk_fma_f32 v[16:17], v[136:137], 2.0, v[14:15] op_sel_hi:[1,0,1] neg_lo:[0,0,1] neg_hi:[0,0,1]
	s_movk_i32 s10, 0x2000
	v_pk_fma_f32 v[12:13], v[54:55], 2.0, v[10:11] op_sel_hi:[1,0,1] neg_lo:[0,0,1] neg_hi:[0,0,1]
	ds_write_b64 v1, v[16:17] offset:23040
	ds_write_b64 v1, v[14:15] offset:26880
	;; [unrolled: 1-line block ×4, first 2 shown]
	v_add_co_u32_e32 v18, vcc, s10, v6
	s_waitcnt lgkmcnt(0)
	s_nop 0
	v_addc_co_u32_e32 v19, vcc, 0, v7, vcc
	v_add_co_u32_e32 v10, vcc, s5, v4
	s_barrier
	s_nop 0
	v_addc_co_u32_e32 v11, vcc, 0, v5, vcc
	global_load_dwordx2 v[22:23], v[18:19], off offset:432
	global_load_dwordx2 v[24:25], v[10:11], off offset:3504
	v_lshl_add_u64 v[10:11], s[8:9], 0, v[68:69]
	v_add_co_u32_e32 v12, vcc, s5, v10
	v_lshl_add_u64 v[16:17], s[8:9], 0, v[74:75]
	s_nop 0
	v_addc_co_u32_e32 v13, vcc, 0, v11, vcc
	global_load_dwordx2 v[26:27], v[12:13], off offset:3504
	v_add_co_u32_e32 v12, vcc, s5, v16
	v_lshl_add_u64 v[14:15], s[8:9], 0, v[80:81]
	s_nop 0
	v_addc_co_u32_e32 v13, vcc, 0, v17, vcc
	v_add_co_u32_e32 v20, vcc, s5, v14
	s_movk_i32 s10, 0x3000
	s_nop 0
	v_addc_co_u32_e32 v21, vcc, 0, v15, vcc
	global_load_dwordx2 v[28:29], v[12:13], off offset:3504
	global_load_dwordx2 v[30:31], v[20:21], off offset:3504
	v_lshl_add_u64 v[12:13], s[8:9], 0, v[78:79]
	v_add_co_u32_e32 v20, vcc, s5, v12
	s_nop 1
	v_addc_co_u32_e32 v21, vcc, 0, v13, vcc
	global_load_dwordx2 v[32:33], v[20:21], off offset:3504
	global_load_dwordx2 v[34:35], v[18:19], off offset:944
	;; [unrolled: 1-line block ×5, first 2 shown]
	v_subrev_u32_e32 v8, 64, v0
	global_load_dwordx2 v[42:43], v[18:19], off offset:4016
	v_add_co_u32_e32 v0, vcc, s10, v6
	s_nop 1
	v_addc_co_u32_e32 v1, vcc, 0, v7, vcc
	v_cmp_gt_u32_e32 vcc, s4, v67
	global_load_dwordx2 v[44:45], v[0:1], off offset:944
	global_load_dwordx2 v[46:47], v[0:1], off offset:1968
	v_cndmask_b32_e32 v62, v8, v67, vcc
	v_lshl_add_u64 v[6:7], v[62:63], 3, s[8:9]
	v_add_co_u32_e32 v6, vcc, s5, v6
	s_movk_i32 s4, 0x3bf
	s_nop 0
	v_addc_co_u32_e32 v7, vcc, 0, v7, vcc
	global_load_dwordx2 v[48:49], v[6:7], off offset:3504
	v_add_co_u32_e32 v6, vcc, s5, v2
	s_nop 1
	v_addc_co_u32_e32 v7, vcc, 0, v3, vcc
	global_load_dwordx2 v[50:51], v[6:7], off offset:3504
	ds_read2st64_b64 v[6:9], v65 offset0:32 offset1:34
	ds_read2st64_b64 v[18:21], v65 offset0:36 offset1:38
	v_cmp_lt_u32_e32 vcc, s4, v67
	v_mov_b32_e32 v67, v63
	s_waitcnt vmcnt(14) lgkmcnt(1)
	v_pk_mul_f32 v[52:53], v[22:23], v[6:7] op_sel:[0,1]
	s_nop 0
	v_pk_fma_f32 v[54:55], v[22:23], v[6:7], v[52:53] op_sel:[0,0,1] op_sel_hi:[1,1,0] neg_lo:[0,0,1] neg_hi:[0,0,1]
	v_pk_fma_f32 v[22:23], v[22:23], v[6:7], v[52:53] op_sel:[0,0,1] op_sel_hi:[1,0,0]
	s_waitcnt vmcnt(13)
	v_pk_mul_f32 v[6:7], v[24:25], v[8:9] op_sel:[0,1]
	v_mov_b32_e32 v55, v23
	v_pk_fma_f32 v[52:53], v[24:25], v[8:9], v[6:7] op_sel:[0,0,1] op_sel_hi:[1,1,0] neg_lo:[0,0,1] neg_hi:[0,0,1]
	v_pk_fma_f32 v[24:25], v[24:25], v[8:9], v[6:7] op_sel:[0,0,1] op_sel_hi:[1,0,0]
	ds_read2st64_b64 v[6:9], v65 offset0:40 offset1:42
	s_waitcnt vmcnt(12) lgkmcnt(1)
	v_pk_mul_f32 v[56:57], v[18:19], v[26:27] op_sel:[0,1]
	v_mov_b32_e32 v53, v25
	v_pk_fma_f32 v[68:69], v[18:19], v[26:27], v[56:57] op_sel:[0,0,1] op_sel_hi:[1,1,0] neg_lo:[0,0,1] neg_hi:[0,0,1]
	v_pk_fma_f32 v[26:27], v[18:19], v[26:27], v[56:57] op_sel:[0,0,1] op_sel_hi:[1,0,0]
	s_waitcnt vmcnt(11)
	v_pk_mul_f32 v[18:19], v[20:21], v[28:29] op_sel:[0,1]
	s_nop 0
	v_pk_fma_f32 v[56:57], v[20:21], v[28:29], v[18:19] op_sel:[0,0,1] op_sel_hi:[1,1,0] neg_lo:[0,0,1] neg_hi:[0,0,1]
	v_pk_fma_f32 v[28:29], v[20:21], v[28:29], v[18:19] op_sel:[0,0,1] op_sel_hi:[1,0,0]
	ds_read2st64_b64 v[18:21], v65 offset0:48 offset1:50
	s_waitcnt vmcnt(10) lgkmcnt(1)
	v_pk_mul_f32 v[74:75], v[6:7], v[30:31] op_sel:[0,1]
	v_mov_b32_e32 v69, v27
	v_pk_fma_f32 v[78:79], v[6:7], v[30:31], v[74:75] op_sel:[0,0,1] op_sel_hi:[1,1,0] neg_lo:[0,0,1] neg_hi:[0,0,1]
	v_pk_fma_f32 v[30:31], v[6:7], v[30:31], v[74:75] op_sel:[0,0,1] op_sel_hi:[1,0,0]
	s_waitcnt vmcnt(9)
	v_pk_mul_f32 v[6:7], v[8:9], v[32:33] op_sel:[0,1]
	s_waitcnt vmcnt(8) lgkmcnt(0)
	v_pk_mul_f32 v[80:81], v[18:19], v[34:35] op_sel:[0,1]
	v_pk_fma_f32 v[74:75], v[8:9], v[32:33], v[6:7] op_sel:[0,0,1] op_sel_hi:[1,1,0] neg_lo:[0,0,1] neg_hi:[0,0,1]
	v_pk_fma_f32 v[32:33], v[8:9], v[32:33], v[6:7] op_sel:[0,0,1] op_sel_hi:[1,0,0]
	ds_read2st64_b64 v[6:9], v65 offset0:52 offset1:54
	v_pk_fma_f32 v[92:93], v[18:19], v[34:35], v[80:81] op_sel:[0,0,1] op_sel_hi:[1,1,0] neg_lo:[0,0,1] neg_hi:[0,0,1]
	v_pk_fma_f32 v[34:35], v[18:19], v[34:35], v[80:81] op_sel:[0,0,1] op_sel_hi:[1,0,0]
	s_waitcnt vmcnt(7)
	v_pk_mul_f32 v[18:19], v[20:21], v[36:37] op_sel:[0,1]
	v_mov_b32_e32 v57, v29
	v_pk_fma_f32 v[80:81], v[20:21], v[36:37], v[18:19] op_sel:[0,0,1] op_sel_hi:[1,1,0] neg_lo:[0,0,1] neg_hi:[0,0,1]
	v_pk_fma_f32 v[36:37], v[20:21], v[36:37], v[18:19] op_sel:[0,0,1] op_sel_hi:[1,0,0]
	ds_read2st64_b64 v[18:21], v65 offset0:56 offset1:58
	s_waitcnt vmcnt(5) lgkmcnt(1)
	v_pk_mul_f32 v[96:97], v[6:7], v[40:41] op_sel:[0,1]
	v_mov_b32_e32 v79, v31
	v_pk_fma_f32 v[98:99], v[6:7], v[40:41], v[96:97] op_sel:[0,0,1] op_sel_hi:[1,1,0] neg_lo:[0,0,1] neg_hi:[0,0,1]
	v_pk_fma_f32 v[40:41], v[6:7], v[40:41], v[96:97] op_sel:[0,0,1] op_sel_hi:[1,0,0]
	s_waitcnt vmcnt(4)
	v_pk_mul_f32 v[6:7], v[8:9], v[42:43] op_sel:[0,1]
	s_waitcnt vmcnt(3) lgkmcnt(0)
	v_pk_mul_f32 v[120:121], v[18:19], v[44:45] op_sel:[0,1]
	v_pk_fma_f32 v[96:97], v[8:9], v[42:43], v[6:7] op_sel:[0,0,1] op_sel_hi:[1,1,0] neg_lo:[0,0,1] neg_hi:[0,0,1]
	v_pk_fma_f32 v[42:43], v[8:9], v[42:43], v[6:7] op_sel:[0,0,1] op_sel_hi:[1,0,0]
	ds_read2st64_b64 v[6:9], v65 offset0:44 offset1:46
	v_pk_fma_f32 v[122:123], v[18:19], v[44:45], v[120:121] op_sel:[0,0,1] op_sel_hi:[1,1,0] neg_lo:[0,0,1] neg_hi:[0,0,1]
	v_pk_fma_f32 v[44:45], v[18:19], v[44:45], v[120:121] op_sel:[0,0,1] op_sel_hi:[1,0,0]
	s_waitcnt vmcnt(2)
	v_pk_mul_f32 v[18:19], v[20:21], v[46:47] op_sel:[0,1]
	v_mov_b32_e32 v75, v33
	v_pk_fma_f32 v[120:121], v[20:21], v[46:47], v[18:19] op_sel:[0,0,1] op_sel_hi:[1,1,0] neg_lo:[0,0,1] neg_hi:[0,0,1]
	v_pk_fma_f32 v[46:47], v[20:21], v[46:47], v[18:19] op_sel:[0,0,1] op_sel_hi:[1,0,0]
	ds_read2st64_b64 v[18:21], v65 offset0:8 offset1:30
	s_waitcnt lgkmcnt(1)
	v_pk_mul_f32 v[124:125], v[8:9], v[38:39] op_sel:[0,1]
	v_mov_b32_e32 v93, v35
	v_pk_fma_f32 v[126:127], v[8:9], v[38:39], v[124:125] op_sel:[0,0,1] op_sel_hi:[1,1,0] neg_lo:[0,0,1] neg_hi:[0,0,1]
	v_pk_fma_f32 v[38:39], v[8:9], v[38:39], v[124:125] op_sel:[0,0,1] op_sel_hi:[1,0,0]
	s_waitcnt vmcnt(1)
	v_pk_mul_f32 v[8:9], v[6:7], v[48:49] op_sel:[0,1]
	s_waitcnt vmcnt(0) lgkmcnt(0)
	v_pk_mul_f32 v[128:129], v[50:51], v[20:21] op_sel:[0,1]
	v_pk_fma_f32 v[124:125], v[6:7], v[48:49], v[8:9] op_sel:[0,0,1] op_sel_hi:[1,1,0] neg_lo:[0,0,1] neg_hi:[0,0,1]
	v_pk_fma_f32 v[48:49], v[6:7], v[48:49], v[8:9] op_sel:[0,0,1] op_sel_hi:[1,0,0]
	ds_read2st64_b64 v[6:9], v65 offset1:2
	v_pk_fma_f32 v[130:131], v[50:51], v[20:21], v[128:129] op_sel:[0,0,1] op_sel_hi:[1,1,0] neg_lo:[0,0,1] neg_hi:[0,0,1]
	v_pk_fma_f32 v[20:21], v[50:51], v[20:21], v[128:129] op_sel:[0,0,1] op_sel_hi:[1,0,0]
	v_mov_b32_e32 v125, v49
	v_mov_b32_e32 v131, v21
	s_waitcnt lgkmcnt(0)
	v_pk_add_f32 v[20:21], v[6:7], v[130:131] neg_lo:[0,1] neg_hi:[0,1]
	v_pk_add_f32 v[22:23], v[8:9], v[54:55] neg_lo:[0,1] neg_hi:[0,1]
	v_pk_fma_f32 v[6:7], v[6:7], 2.0, v[20:21] op_sel_hi:[1,0,1] neg_lo:[0,0,1] neg_hi:[0,0,1]
	v_pk_fma_f32 v[8:9], v[8:9], 2.0, v[22:23] op_sel_hi:[1,0,1] neg_lo:[0,0,1] neg_hi:[0,0,1]
	ds_read_b64 v[50:51], v113
	ds_read_b64 v[54:55], v71
	;; [unrolled: 1-line block ×12, first 2 shown]
	s_waitcnt lgkmcnt(0)
	s_barrier
	ds_write2st64_b64 v65, v[6:7], v[8:9] offset1:2
	ds_write2st64_b64 v65, v[20:21], v[22:23] offset0:15 offset1:17
	v_pk_add_f32 v[6:7], v[50:51], v[52:53] neg_lo:[0,1] neg_hi:[0,1]
	v_mov_b32_e32 v127, v39
	v_pk_fma_f32 v[8:9], v[50:51], 2.0, v[6:7] op_sel_hi:[1,0,1] neg_lo:[0,0,1] neg_hi:[0,0,1]
	ds_write2st64_b64 v113, v[8:9], v[6:7] offset1:15
	v_pk_add_f32 v[6:7], v[54:55], v[68:69] neg_lo:[0,1] neg_hi:[0,1]
	v_mov_b32_e32 v81, v37
	v_pk_fma_f32 v[8:9], v[54:55], 2.0, v[6:7] op_sel_hi:[1,0,1] neg_lo:[0,0,1] neg_hi:[0,0,1]
	ds_write2st64_b64 v71, v[8:9], v[6:7] offset1:15
	v_pk_add_f32 v[6:7], v[18:19], v[56:57] neg_lo:[0,1] neg_hi:[0,1]
	v_mov_b32_e32 v99, v41
	v_pk_fma_f32 v[8:9], v[18:19], 2.0, v[6:7] op_sel_hi:[1,0,1] neg_lo:[0,0,1] neg_hi:[0,0,1]
	ds_write_b64 v65, v[8:9] offset:4096
	ds_write_b64 v65, v[6:7] offset:11776
	v_pk_add_f32 v[6:7], v[128:129], v[78:79] neg_lo:[0,1] neg_hi:[0,1]
	v_mov_b32_e32 v97, v43
	v_pk_fma_f32 v[8:9], v[128:129], 2.0, v[6:7] op_sel_hi:[1,0,1] neg_lo:[0,0,1] neg_hi:[0,0,1]
	ds_write2st64_b64 v101, v[8:9], v[6:7] offset1:15
	v_pk_add_f32 v[6:7], v[130:131], v[74:75] neg_lo:[0,1] neg_hi:[0,1]
	v_mov_b32_e32 v123, v45
	v_pk_fma_f32 v[8:9], v[130:131], 2.0, v[6:7] op_sel_hi:[1,0,1] neg_lo:[0,0,1] neg_hi:[0,0,1]
	ds_write2st64_b64 v95, v[8:9], v[6:7] offset1:15
	v_mov_b32_e32 v6, 0x3c00
	v_cndmask_b32_e32 v6, 0, v6, vcc
	v_lshlrev_b32_e32 v7, 3, v62
	v_add3_u32 v18, 0, v6, v7
	v_pk_add_f32 v[6:7], v[146:147], v[124:125] neg_lo:[0,1] neg_hi:[0,1]
	v_mov_b32_e32 v121, v47
	v_pk_fma_f32 v[8:9], v[146:147], 2.0, v[6:7] op_sel_hi:[1,0,1] neg_lo:[0,0,1] neg_hi:[0,0,1]
	ds_write2st64_b64 v18, v[8:9], v[6:7] offset1:15
	v_pk_add_f32 v[6:7], v[144:145], v[126:127] neg_lo:[0,1] neg_hi:[0,1]
	v_pk_add_f32 v[18:19], v[142:143], v[92:93] neg_lo:[0,1] neg_hi:[0,1]
	v_pk_fma_f32 v[8:9], v[144:145], 2.0, v[6:7] op_sel_hi:[1,0,1] neg_lo:[0,0,1] neg_hi:[0,0,1]
	v_pk_fma_f32 v[20:21], v[142:143], 2.0, v[18:19] op_sel_hi:[1,0,1] neg_lo:[0,0,1] neg_hi:[0,0,1]
	ds_write2st64_b64 v65, v[8:9], v[20:21] offset0:31 offset1:33
	v_pk_add_f32 v[8:9], v[132:133], v[80:81] neg_lo:[0,1] neg_hi:[0,1]
	ds_write2st64_b64 v65, v[18:19], v[8:9] offset0:48 offset1:50
	v_pk_add_f32 v[18:19], v[134:135], v[98:99] neg_lo:[0,1] neg_hi:[0,1]
	v_pk_fma_f32 v[8:9], v[132:133], 2.0, v[8:9] op_sel_hi:[1,0,1] neg_lo:[0,0,1] neg_hi:[0,0,1]
	v_pk_fma_f32 v[20:21], v[134:135], 2.0, v[18:19] op_sel_hi:[1,0,1] neg_lo:[0,0,1] neg_hi:[0,0,1]
	ds_write2st64_b64 v65, v[8:9], v[20:21] offset0:35 offset1:37
	v_pk_add_f32 v[8:9], v[136:137], v[96:97] neg_lo:[0,1] neg_hi:[0,1]
	ds_write2st64_b64 v65, v[18:19], v[8:9] offset0:52 offset1:54
	v_pk_add_f32 v[18:19], v[138:139], v[122:123] neg_lo:[0,1] neg_hi:[0,1]
	v_pk_fma_f32 v[8:9], v[136:137], 2.0, v[8:9] op_sel_hi:[1,0,1] neg_lo:[0,0,1] neg_hi:[0,0,1]
	v_pk_fma_f32 v[20:21], v[138:139], 2.0, v[18:19] op_sel_hi:[1,0,1] neg_lo:[0,0,1] neg_hi:[0,0,1]
	v_pk_add_f32 v[22:23], v[140:141], v[120:121] neg_lo:[0,1] neg_hi:[0,1]
	v_lshl_add_u64 v[26:27], s[8:9], 0, v[90:91]
	v_pk_fma_f32 v[24:25], v[140:141], 2.0, v[22:23] op_sel_hi:[1,0,1] neg_lo:[0,0,1] neg_hi:[0,0,1]
	ds_write2st64_b64 v65, v[8:9], v[20:21] offset0:39 offset1:41
	ds_write2st64_b64 v65, v[24:25], v[6:7] offset0:43 offset1:46
	;; [unrolled: 1-line block ×3, first 2 shown]
	v_add_co_u32_e32 v8, vcc, s10, v16
	s_waitcnt lgkmcnt(0)
	s_nop 0
	v_addc_co_u32_e32 v9, vcc, 0, v17, vcc
	v_add_co_u32_e32 v14, vcc, s10, v14
	s_barrier
	s_nop 0
	v_addc_co_u32_e32 v15, vcc, 0, v15, vcc
	global_load_dwordx2 v[6:7], v[14:15], off offset:2992
	global_load_dwordx2 v[16:17], v[0:1], off offset:4016
	v_add_co_u32_e32 v0, vcc, s10, v4
	v_lshl_add_u64 v[24:25], s[8:9], 0, v[88:89]
	s_nop 0
	v_addc_co_u32_e32 v1, vcc, 0, v5, vcc
	global_load_dwordx2 v[4:5], v[0:1], off offset:2992
	v_add_co_u32_e32 v0, vcc, s10, v10
	s_nop 1
	v_addc_co_u32_e32 v1, vcc, 0, v11, vcc
	global_load_dwordx2 v[14:15], v[8:9], off offset:2992
	global_load_dwordx2 v[18:19], v[0:1], off offset:2992
	v_add_co_u32_e32 v0, vcc, s10, v12
	v_lshl_add_u64 v[10:11], s[8:9], 0, v[72:73]
	s_nop 0
	v_addc_co_u32_e32 v1, vcc, 0, v13, vcc
	v_lshl_add_u64 v[12:13], s[8:9], 0, v[76:77]
	v_add_co_u32_e32 v12, vcc, s10, v12
	v_lshl_add_u64 v[8:9], s[8:9], 0, v[66:67]
	s_nop 0
	v_addc_co_u32_e32 v13, vcc, 0, v13, vcc
	global_load_dwordx2 v[20:21], v[0:1], off offset:2992
	global_load_dwordx2 v[22:23], v[12:13], off offset:2992
	v_lshl_add_u64 v[0:1], s[8:9], 0, v[84:85]
	v_add_co_u32_e32 v0, vcc, s10, v0
	v_lshl_add_u64 v[12:13], s[8:9], 0, v[86:87]
	s_nop 0
	v_addc_co_u32_e32 v1, vcc, 0, v1, vcc
	v_add_co_u32_e32 v12, vcc, s10, v12
	s_nop 1
	v_addc_co_u32_e32 v13, vcc, 0, v13, vcc
	v_add_co_u32_e32 v24, vcc, s10, v24
	;; [unrolled: 3-line block ×3, first 2 shown]
	s_nop 1
	v_addc_co_u32_e32 v27, vcc, 0, v27, vcc
	global_load_dwordx2 v[28:29], v[0:1], off offset:2992
	global_load_dwordx2 v[30:31], v[12:13], off offset:2992
	global_load_dwordx2 v[32:33], v[24:25], off offset:2992
	global_load_dwordx2 v[34:35], v[26:27], off offset:2992
	v_lshl_add_u64 v[0:1], s[8:9], 0, v[82:83]
	v_add_co_u32_e32 v0, vcc, s10, v0
	s_nop 1
	v_addc_co_u32_e32 v1, vcc, 0, v1, vcc
	global_load_dwordx2 v[12:13], v[0:1], off offset:2992
	v_add_co_u32_e32 v0, vcc, s10, v10
	s_nop 1
	v_addc_co_u32_e32 v1, vcc, 0, v11, vcc
	global_load_dwordx2 v[24:25], v[0:1], off offset:2992
	;; [unrolled: 4-line block ×3, first 2 shown]
	v_add_co_u32_e32 v0, vcc, s10, v2
	ds_read2st64_b64 v[8:11], v65 offset0:36 offset1:38
	s_nop 0
	v_addc_co_u32_e32 v1, vcc, 0, v3, vcc
	global_load_dwordx2 v[36:37], v[0:1], off offset:2992
	ds_read2st64_b64 v[0:3], v65 offset0:32 offset1:34
	s_waitcnt vmcnt(13) lgkmcnt(0)
	v_pk_mul_f32 v[38:39], v[16:17], v[0:1] op_sel:[0,1]
	s_nop 0
	v_pk_fma_f32 v[40:41], v[16:17], v[0:1], v[38:39] op_sel:[0,0,1] op_sel_hi:[1,1,0] neg_lo:[0,0,1] neg_hi:[0,0,1]
	v_pk_fma_f32 v[16:17], v[16:17], v[0:1], v[38:39] op_sel:[0,0,1] op_sel_hi:[1,0,0]
	s_waitcnt vmcnt(12)
	v_pk_mul_f32 v[0:1], v[4:5], v[2:3] op_sel:[0,1]
	s_nop 0
	v_pk_fma_f32 v[38:39], v[4:5], v[2:3], v[0:1] op_sel:[0,0,1] op_sel_hi:[1,1,0] neg_lo:[0,0,1] neg_hi:[0,0,1]
	v_pk_fma_f32 v[42:43], v[4:5], v[2:3], v[0:1] op_sel:[0,0,1] op_sel_hi:[1,0,0]
	ds_read2st64_b64 v[0:3], v65 offset0:40 offset1:42
	v_mov_b32_e32 v41, v17
	v_mov_b32_e32 v39, v43
	s_waitcnt vmcnt(10)
	v_pk_mul_f32 v[4:5], v[8:9], v[18:19] op_sel:[0,1]
	s_nop 0
	v_pk_fma_f32 v[44:45], v[8:9], v[18:19], v[4:5] op_sel:[0,0,1] op_sel_hi:[1,1,0] neg_lo:[0,0,1] neg_hi:[0,0,1]
	v_pk_fma_f32 v[18:19], v[8:9], v[18:19], v[4:5] op_sel:[0,0,1] op_sel_hi:[1,0,0]
	v_pk_mul_f32 v[4:5], v[10:11], v[14:15] op_sel:[0,1]
	v_mov_b32_e32 v45, v19
	v_pk_fma_f32 v[46:47], v[10:11], v[14:15], v[4:5] op_sel:[0,0,1] op_sel_hi:[1,1,0] neg_lo:[0,0,1] neg_hi:[0,0,1]
	v_pk_fma_f32 v[14:15], v[10:11], v[14:15], v[4:5] op_sel:[0,0,1] op_sel_hi:[1,0,0]
	ds_read2st64_b64 v[8:11], v65 offset0:48 offset1:50
	s_waitcnt lgkmcnt(1)
	v_pk_mul_f32 v[4:5], v[0:1], v[6:7] op_sel:[0,1]
	v_mov_b32_e32 v47, v15
	v_pk_fma_f32 v[48:49], v[0:1], v[6:7], v[4:5] op_sel:[0,0,1] op_sel_hi:[1,1,0] neg_lo:[0,0,1] neg_hi:[0,0,1]
	v_pk_fma_f32 v[50:51], v[0:1], v[6:7], v[4:5] op_sel:[0,0,1] op_sel_hi:[1,0,0]
	s_waitcnt vmcnt(9)
	v_pk_mul_f32 v[0:1], v[2:3], v[20:21] op_sel:[0,1]
	s_waitcnt vmcnt(8) lgkmcnt(0)
	v_pk_mul_f32 v[4:5], v[8:9], v[22:23] op_sel:[0,1]
	v_pk_fma_f32 v[52:53], v[2:3], v[20:21], v[0:1] op_sel:[0,0,1] op_sel_hi:[1,1,0] neg_lo:[0,0,1] neg_hi:[0,0,1]
	v_pk_fma_f32 v[20:21], v[2:3], v[20:21], v[0:1] op_sel:[0,0,1] op_sel_hi:[1,0,0]
	ds_read2st64_b64 v[0:3], v65 offset0:52 offset1:54
	v_pk_fma_f32 v[54:55], v[8:9], v[22:23], v[4:5] op_sel:[0,0,1] op_sel_hi:[1,1,0] neg_lo:[0,0,1] neg_hi:[0,0,1]
	v_pk_fma_f32 v[8:9], v[8:9], v[22:23], v[4:5] op_sel:[0,0,1] op_sel_hi:[1,0,0]
	v_mov_b32_e32 v49, v51
	v_mov_b32_e32 v53, v21
	;; [unrolled: 1-line block ×3, first 2 shown]
	s_waitcnt vmcnt(7)
	v_pk_mul_f32 v[4:5], v[10:11], v[28:29] op_sel:[0,1]
	s_nop 0
	v_pk_fma_f32 v[22:23], v[10:11], v[28:29], v[4:5] op_sel:[0,0,1] op_sel_hi:[1,1,0] neg_lo:[0,0,1] neg_hi:[0,0,1]
	v_pk_fma_f32 v[10:11], v[10:11], v[28:29], v[4:5] op_sel:[0,0,1] op_sel_hi:[1,0,0]
	ds_read2st64_b64 v[4:7], v65 offset0:56 offset1:58
	s_waitcnt vmcnt(6) lgkmcnt(1)
	v_pk_mul_f32 v[28:29], v[0:1], v[30:31] op_sel:[0,1]
	v_mov_b32_e32 v23, v11
	v_pk_fma_f32 v[56:57], v[0:1], v[30:31], v[28:29] op_sel:[0,0,1] op_sel_hi:[1,1,0] neg_lo:[0,0,1] neg_hi:[0,0,1]
	v_pk_fma_f32 v[28:29], v[0:1], v[30:31], v[28:29] op_sel:[0,0,1] op_sel_hi:[1,0,0]
	s_waitcnt vmcnt(5)
	v_pk_mul_f32 v[0:1], v[2:3], v[32:33] op_sel:[0,1]
	s_waitcnt vmcnt(4) lgkmcnt(0)
	v_pk_mul_f32 v[66:67], v[4:5], v[34:35] op_sel:[0,1]
	v_pk_fma_f32 v[30:31], v[2:3], v[32:33], v[0:1] op_sel:[0,0,1] op_sel_hi:[1,1,0] neg_lo:[0,0,1] neg_hi:[0,0,1]
	v_pk_fma_f32 v[32:33], v[2:3], v[32:33], v[0:1] op_sel:[0,0,1] op_sel_hi:[1,0,0]
	ds_read2st64_b64 v[0:3], v65 offset0:44 offset1:46
	v_pk_fma_f32 v[68:69], v[4:5], v[34:35], v[66:67] op_sel:[0,0,1] op_sel_hi:[1,1,0] neg_lo:[0,0,1] neg_hi:[0,0,1]
	v_pk_fma_f32 v[34:35], v[4:5], v[34:35], v[66:67] op_sel:[0,0,1] op_sel_hi:[1,0,0]
	s_waitcnt vmcnt(3)
	v_pk_mul_f32 v[4:5], v[6:7], v[12:13] op_sel:[0,1]
	v_mov_b32_e32 v57, v29
	v_pk_fma_f32 v[66:67], v[6:7], v[12:13], v[4:5] op_sel:[0,0,1] op_sel_hi:[1,1,0] neg_lo:[0,0,1] neg_hi:[0,0,1]
	v_pk_fma_f32 v[12:13], v[6:7], v[12:13], v[4:5] op_sel:[0,0,1] op_sel_hi:[1,0,0]
	ds_read2st64_b64 v[4:7], v65 offset0:8 offset1:30
	s_waitcnt vmcnt(2) lgkmcnt(1)
	v_pk_mul_f32 v[72:73], v[2:3], v[24:25] op_sel:[0,1]
	v_mov_b32_e32 v31, v33
	v_pk_fma_f32 v[74:75], v[2:3], v[24:25], v[72:73] op_sel:[0,0,1] op_sel_hi:[1,1,0] neg_lo:[0,0,1] neg_hi:[0,0,1]
	v_pk_fma_f32 v[24:25], v[2:3], v[24:25], v[72:73] op_sel:[0,0,1] op_sel_hi:[1,0,0]
	s_waitcnt vmcnt(1)
	v_pk_mul_f32 v[2:3], v[0:1], v[26:27] op_sel:[0,1]
	v_mov_b32_e32 v75, v25
	v_pk_fma_f32 v[72:73], v[0:1], v[26:27], v[2:3] op_sel:[0,0,1] op_sel_hi:[1,1,0] neg_lo:[0,0,1] neg_hi:[0,0,1]
	v_pk_fma_f32 v[26:27], v[0:1], v[26:27], v[2:3] op_sel:[0,0,1] op_sel_hi:[1,0,0]
	ds_read2st64_b64 v[0:3], v65 offset1:2
	s_waitcnt vmcnt(0) lgkmcnt(1)
	v_pk_mul_f32 v[76:77], v[36:37], v[6:7] op_sel:[0,1]
	v_mov_b32_e32 v69, v35
	v_pk_fma_f32 v[78:79], v[36:37], v[6:7], v[76:77] op_sel:[0,0,1] op_sel_hi:[1,1,0] neg_lo:[0,0,1] neg_hi:[0,0,1]
	v_pk_fma_f32 v[6:7], v[36:37], v[6:7], v[76:77] op_sel:[0,0,1] op_sel_hi:[1,0,0]
	s_waitcnt lgkmcnt(0)
	v_pk_add_f32 v[16:17], v[2:3], v[40:41] neg_lo:[0,1] neg_hi:[0,1]
	v_mov_b32_e32 v79, v7
	v_pk_add_f32 v[6:7], v[0:1], v[78:79] neg_lo:[0,1] neg_hi:[0,1]
	v_pk_fma_f32 v[2:3], v[2:3], 2.0, v[16:17] op_sel_hi:[1,0,1] neg_lo:[0,0,1] neg_hi:[0,0,1]
	v_pk_fma_f32 v[0:1], v[0:1], 2.0, v[6:7] op_sel_hi:[1,0,1] neg_lo:[0,0,1] neg_hi:[0,0,1]
	ds_read_b64 v[36:37], v113
	ds_read_b64 v[40:41], v71
	;; [unrolled: 1-line block ×12, first 2 shown]
	s_waitcnt lgkmcnt(0)
	s_barrier
	ds_write2st64_b64 v65, v[0:1], v[2:3] offset1:2
	ds_write2st64_b64 v65, v[6:7], v[16:17] offset0:30 offset1:32
	v_pk_add_f32 v[0:1], v[36:37], v[38:39] neg_lo:[0,1] neg_hi:[0,1]
	v_mov_b32_e32 v67, v13
	v_pk_fma_f32 v[2:3], v[36:37], 2.0, v[0:1] op_sel_hi:[1,0,1] neg_lo:[0,0,1] neg_hi:[0,0,1]
	ds_write2st64_b64 v113, v[2:3], v[0:1] offset1:30
	v_pk_add_f32 v[0:1], v[40:41], v[44:45] neg_lo:[0,1] neg_hi:[0,1]
	v_mov_b32_e32 v73, v27
	v_pk_fma_f32 v[2:3], v[40:41], 2.0, v[0:1] op_sel_hi:[1,0,1] neg_lo:[0,0,1] neg_hi:[0,0,1]
	ds_write2st64_b64 v71, v[2:3], v[0:1] offset1:30
	v_pk_add_f32 v[0:1], v[4:5], v[46:47] neg_lo:[0,1] neg_hi:[0,1]
	v_pk_add_f32 v[8:9], v[78:79], v[52:53] neg_lo:[0,1] neg_hi:[0,1]
	v_pk_fma_f32 v[2:3], v[4:5], 2.0, v[0:1] op_sel_hi:[1,0,1] neg_lo:[0,0,1] neg_hi:[0,0,1]
	v_pk_add_f32 v[4:5], v[76:77], v[48:49] neg_lo:[0,1] neg_hi:[0,1]
	v_pk_add_f32 v[12:13], v[92:93], v[74:75] neg_lo:[0,1] neg_hi:[0,1]
	;; [unrolled: 1-line block ×9, first 2 shown]
	v_pk_fma_f32 v[6:7], v[76:77], 2.0, v[4:5] op_sel_hi:[1,0,1] neg_lo:[0,0,1] neg_hi:[0,0,1]
	v_pk_fma_f32 v[10:11], v[78:79], 2.0, v[8:9] op_sel_hi:[1,0,1] neg_lo:[0,0,1] neg_hi:[0,0,1]
	;; [unrolled: 1-line block ×10, first 2 shown]
	ds_write_b64 v65, v[2:3] offset:4096
	ds_write_b64 v65, v[0:1] offset:19456
	ds_write2st64_b64 v101, v[6:7], v[4:5] offset1:30
	ds_write2st64_b64 v95, v[10:11], v[8:9] offset1:30
	;; [unrolled: 1-line block ×10, first 2 shown]
	s_waitcnt lgkmcnt(0)
	s_barrier
	s_and_saveexec_b64 s[4:5], s[0:1]
	s_cbranch_execz .LBB0_21
; %bb.20:
	v_mul_lo_u32 v0, s3, v60
	v_mul_lo_u32 v1, s2, v61
	v_mad_u64_u32 v[4:5], s[0:1], s2, v60, 0
	v_lshl_add_u32 v10, v64, 3, 0
	v_add3_u32 v5, v5, v1, v0
	ds_read2st64_b64 v[0:3], v10 offset1:2
	v_lshl_add_u64 v[4:5], v[4:5], 3, s[6:7]
	v_mov_b32_e32 v65, v63
	v_lshl_add_u64 v[8:9], v[58:59], 3, v[4:5]
	v_lshl_add_u64 v[4:5], v[64:65], 3, v[8:9]
	s_waitcnt lgkmcnt(0)
	global_store_dwordx2 v[4:5], v[0:1], off
	ds_read2st64_b64 v[4:7], v10 offset0:4 offset1:6
	v_add_u32_e32 v62, 0x80, v64
	v_lshl_add_u64 v[0:1], v[62:63], 3, v[8:9]
	v_add_u32_e32 v62, 0x100, v64
	global_store_dwordx2 v[0:1], v[2:3], off
	v_lshl_add_u64 v[0:1], v[62:63], 3, v[8:9]
	s_waitcnt lgkmcnt(0)
	global_store_dwordx2 v[0:1], v[4:5], off
	ds_read2st64_b64 v[0:3], v10 offset0:8 offset1:10
	v_add_u32_e32 v62, 0x180, v64
	v_lshl_add_u64 v[4:5], v[62:63], 3, v[8:9]
	v_add_u32_e32 v62, 0x200, v64
	global_store_dwordx2 v[4:5], v[6:7], off
	;; [unrolled: 8-line block ×14, first 2 shown]
	v_lshl_add_u64 v[4:5], v[62:63], 3, v[8:9]
	v_add_u32_e32 v62, 0xe80, v64
	s_waitcnt lgkmcnt(0)
	global_store_dwordx2 v[4:5], v[0:1], off
	v_lshl_add_u64 v[0:1], v[62:63], 3, v[8:9]
	global_store_dwordx2 v[0:1], v[2:3], off
.LBB0_21:
	s_endpgm
	.section	.rodata,"a",@progbits
	.p2align	6, 0x0
	.amdhsa_kernel fft_rtc_fwd_len3840_factors_10_6_2_2_2_2_2_2_wgs_128_tpt_128_halfLds_sp_op_CI_CI_unitstride_sbrr_C2R_dirReg
		.amdhsa_group_segment_fixed_size 0
		.amdhsa_private_segment_fixed_size 0
		.amdhsa_kernarg_size 104
		.amdhsa_user_sgpr_count 2
		.amdhsa_user_sgpr_dispatch_ptr 0
		.amdhsa_user_sgpr_queue_ptr 0
		.amdhsa_user_sgpr_kernarg_segment_ptr 1
		.amdhsa_user_sgpr_dispatch_id 0
		.amdhsa_user_sgpr_kernarg_preload_length 0
		.amdhsa_user_sgpr_kernarg_preload_offset 0
		.amdhsa_user_sgpr_private_segment_size 0
		.amdhsa_uses_dynamic_stack 0
		.amdhsa_enable_private_segment 0
		.amdhsa_system_sgpr_workgroup_id_x 1
		.amdhsa_system_sgpr_workgroup_id_y 0
		.amdhsa_system_sgpr_workgroup_id_z 0
		.amdhsa_system_sgpr_workgroup_info 0
		.amdhsa_system_vgpr_workitem_id 0
		.amdhsa_next_free_vgpr 194
		.amdhsa_next_free_sgpr 28
		.amdhsa_accum_offset 196
		.amdhsa_reserve_vcc 1
		.amdhsa_float_round_mode_32 0
		.amdhsa_float_round_mode_16_64 0
		.amdhsa_float_denorm_mode_32 3
		.amdhsa_float_denorm_mode_16_64 3
		.amdhsa_dx10_clamp 1
		.amdhsa_ieee_mode 1
		.amdhsa_fp16_overflow 0
		.amdhsa_tg_split 0
		.amdhsa_exception_fp_ieee_invalid_op 0
		.amdhsa_exception_fp_denorm_src 0
		.amdhsa_exception_fp_ieee_div_zero 0
		.amdhsa_exception_fp_ieee_overflow 0
		.amdhsa_exception_fp_ieee_underflow 0
		.amdhsa_exception_fp_ieee_inexact 0
		.amdhsa_exception_int_div_zero 0
	.end_amdhsa_kernel
	.text
.Lfunc_end0:
	.size	fft_rtc_fwd_len3840_factors_10_6_2_2_2_2_2_2_wgs_128_tpt_128_halfLds_sp_op_CI_CI_unitstride_sbrr_C2R_dirReg, .Lfunc_end0-fft_rtc_fwd_len3840_factors_10_6_2_2_2_2_2_2_wgs_128_tpt_128_halfLds_sp_op_CI_CI_unitstride_sbrr_C2R_dirReg
                                        ; -- End function
	.section	.AMDGPU.csdata,"",@progbits
; Kernel info:
; codeLenInByte = 21272
; NumSgprs: 34
; NumVgprs: 194
; NumAgprs: 0
; TotalNumVgprs: 194
; ScratchSize: 0
; MemoryBound: 0
; FloatMode: 240
; IeeeMode: 1
; LDSByteSize: 0 bytes/workgroup (compile time only)
; SGPRBlocks: 4
; VGPRBlocks: 24
; NumSGPRsForWavesPerEU: 34
; NumVGPRsForWavesPerEU: 194
; AccumOffset: 196
; Occupancy: 2
; WaveLimiterHint : 1
; COMPUTE_PGM_RSRC2:SCRATCH_EN: 0
; COMPUTE_PGM_RSRC2:USER_SGPR: 2
; COMPUTE_PGM_RSRC2:TRAP_HANDLER: 0
; COMPUTE_PGM_RSRC2:TGID_X_EN: 1
; COMPUTE_PGM_RSRC2:TGID_Y_EN: 0
; COMPUTE_PGM_RSRC2:TGID_Z_EN: 0
; COMPUTE_PGM_RSRC2:TIDIG_COMP_CNT: 0
; COMPUTE_PGM_RSRC3_GFX90A:ACCUM_OFFSET: 48
; COMPUTE_PGM_RSRC3_GFX90A:TG_SPLIT: 0
	.text
	.p2alignl 6, 3212836864
	.fill 256, 4, 3212836864
	.type	__hip_cuid_fad5627abcd908a6,@object ; @__hip_cuid_fad5627abcd908a6
	.section	.bss,"aw",@nobits
	.globl	__hip_cuid_fad5627abcd908a6
__hip_cuid_fad5627abcd908a6:
	.byte	0                               ; 0x0
	.size	__hip_cuid_fad5627abcd908a6, 1

	.ident	"AMD clang version 19.0.0git (https://github.com/RadeonOpenCompute/llvm-project roc-6.4.0 25133 c7fe45cf4b819c5991fe208aaa96edf142730f1d)"
	.section	".note.GNU-stack","",@progbits
	.addrsig
	.addrsig_sym __hip_cuid_fad5627abcd908a6
	.amdgpu_metadata
---
amdhsa.kernels:
  - .agpr_count:     0
    .args:
      - .actual_access:  read_only
        .address_space:  global
        .offset:         0
        .size:           8
        .value_kind:     global_buffer
      - .offset:         8
        .size:           8
        .value_kind:     by_value
      - .actual_access:  read_only
        .address_space:  global
        .offset:         16
        .size:           8
        .value_kind:     global_buffer
      - .actual_access:  read_only
        .address_space:  global
        .offset:         24
        .size:           8
        .value_kind:     global_buffer
      - .actual_access:  read_only
        .address_space:  global
        .offset:         32
        .size:           8
        .value_kind:     global_buffer
      - .offset:         40
        .size:           8
        .value_kind:     by_value
      - .actual_access:  read_only
        .address_space:  global
        .offset:         48
        .size:           8
        .value_kind:     global_buffer
      - .actual_access:  read_only
        .address_space:  global
        .offset:         56
        .size:           8
        .value_kind:     global_buffer
      - .offset:         64
        .size:           4
        .value_kind:     by_value
      - .actual_access:  read_only
        .address_space:  global
        .offset:         72
        .size:           8
        .value_kind:     global_buffer
      - .actual_access:  read_only
        .address_space:  global
        .offset:         80
        .size:           8
        .value_kind:     global_buffer
      - .actual_access:  read_only
        .address_space:  global
        .offset:         88
        .size:           8
        .value_kind:     global_buffer
      - .actual_access:  write_only
        .address_space:  global
        .offset:         96
        .size:           8
        .value_kind:     global_buffer
    .group_segment_fixed_size: 0
    .kernarg_segment_align: 8
    .kernarg_segment_size: 104
    .language:       OpenCL C
    .language_version:
      - 2
      - 0
    .max_flat_workgroup_size: 128
    .name:           fft_rtc_fwd_len3840_factors_10_6_2_2_2_2_2_2_wgs_128_tpt_128_halfLds_sp_op_CI_CI_unitstride_sbrr_C2R_dirReg
    .private_segment_fixed_size: 0
    .sgpr_count:     34
    .sgpr_spill_count: 0
    .symbol:         fft_rtc_fwd_len3840_factors_10_6_2_2_2_2_2_2_wgs_128_tpt_128_halfLds_sp_op_CI_CI_unitstride_sbrr_C2R_dirReg.kd
    .uniform_work_group_size: 1
    .uses_dynamic_stack: false
    .vgpr_count:     194
    .vgpr_spill_count: 0
    .wavefront_size: 64
amdhsa.target:   amdgcn-amd-amdhsa--gfx950
amdhsa.version:
  - 1
  - 2
...

	.end_amdgpu_metadata
